;; amdgpu-corpus repo=ROCm/rocFFT kind=compiled arch=gfx1030 opt=O3
	.text
	.amdgcn_target "amdgcn-amd-amdhsa--gfx1030"
	.amdhsa_code_object_version 6
	.protected	fft_rtc_fwd_len289_factors_17_17_wgs_119_tpt_17_dp_ip_CI_sbcc_twdbase8_2step_dirReg ; -- Begin function fft_rtc_fwd_len289_factors_17_17_wgs_119_tpt_17_dp_ip_CI_sbcc_twdbase8_2step_dirReg
	.globl	fft_rtc_fwd_len289_factors_17_17_wgs_119_tpt_17_dp_ip_CI_sbcc_twdbase8_2step_dirReg
	.p2align	8
	.type	fft_rtc_fwd_len289_factors_17_17_wgs_119_tpt_17_dp_ip_CI_sbcc_twdbase8_2step_dirReg,@function
fft_rtc_fwd_len289_factors_17_17_wgs_119_tpt_17_dp_ip_CI_sbcc_twdbase8_2step_dirReg: ; @fft_rtc_fwd_len289_factors_17_17_wgs_119_tpt_17_dp_ip_CI_sbcc_twdbase8_2step_dirReg
; %bb.0:
	s_load_dwordx4 s[12:15], s[4:5], 0x18
	s_mov_b64 s[66:67], s[2:3]
	s_mov_b64 s[64:65], s[0:1]
	v_mov_b32_e32 v2, v0
	s_add_u32 s64, s64, s7
	s_addc_u32 s65, s65, 0
	s_mov_b64 s[22:23], 0
	s_waitcnt lgkmcnt(0)
	s_load_dwordx2 s[18:19], s[12:13], 0x8
	s_waitcnt lgkmcnt(0)
	s_add_u32 s0, s18, -1
	s_addc_u32 s1, s19, -1
	s_add_u32 s2, 0, 0x92481000
	s_addc_u32 s3, 0, 0x64
	s_mul_hi_u32 s8, s2, -7
	s_add_i32 s3, s3, 0x249248c0
	s_sub_i32 s8, s8, s2
	s_mul_i32 s10, s3, -7
	s_mul_i32 s7, s2, -7
	s_add_i32 s8, s8, s10
	s_mul_hi_u32 s9, s2, s7
	s_mul_i32 s16, s2, s8
	s_mul_hi_u32 s10, s2, s8
	s_mul_hi_u32 s11, s3, s7
	s_mul_i32 s7, s3, s7
	s_add_u32 s9, s9, s16
	s_addc_u32 s10, 0, s10
	s_mul_hi_u32 s17, s3, s8
	s_add_u32 s7, s9, s7
	s_mul_i32 s8, s3, s8
	s_addc_u32 s7, s10, s11
	s_addc_u32 s9, s17, 0
	s_add_u32 s7, s7, s8
	v_add_co_u32 v0, s2, s2, s7
	s_addc_u32 s7, 0, s9
	s_cmp_lg_u32 s2, 0
	s_addc_u32 s2, s3, s7
	v_readfirstlane_b32 s3, v0
	s_mul_i32 s8, s0, s2
	s_mul_hi_u32 s7, s0, s2
	s_mul_hi_u32 s9, s1, s2
	s_mul_i32 s2, s1, s2
	s_mul_hi_u32 s10, s0, s3
	s_mul_hi_u32 s11, s1, s3
	s_mul_i32 s3, s1, s3
	s_add_u32 s8, s10, s8
	s_addc_u32 s7, 0, s7
	s_add_u32 s3, s8, s3
	s_addc_u32 s3, s7, s11
	s_addc_u32 s7, s9, 0
	s_add_u32 s2, s3, s2
	s_addc_u32 s3, 0, s7
	s_mul_i32 s8, s2, 7
	s_add_u32 s7, s2, 1
	v_sub_co_u32 v0, s0, s0, s8
	s_mul_hi_u32 s8, s2, 7
	s_addc_u32 s9, s3, 0
	s_mul_i32 s10, s3, 7
	v_sub_co_u32 v1, s11, v0, 7
	s_add_u32 s16, s2, 2
	s_addc_u32 s17, s3, 0
	s_add_i32 s8, s8, s10
	s_cmp_lg_u32 s0, 0
	v_readfirstlane_b32 s0, v1
	s_subb_u32 s1, s1, s8
	s_cmp_lg_u32 s11, 0
	s_subb_u32 s8, s1, 0
	s_cmp_gt_u32 s0, 6
	s_cselect_b32 s0, -1, 0
	s_cmp_eq_u32 s8, 0
	v_readfirstlane_b32 s8, v0
	s_cselect_b32 s0, s0, -1
	s_cmp_lg_u32 s0, 0
	s_cselect_b32 s0, s16, s7
	s_cselect_b32 s9, s17, s9
	s_cmp_gt_u32 s8, 6
	s_cselect_b32 s7, -1, 0
	s_cmp_eq_u32 s1, 0
	s_cselect_b32 s1, s7, -1
	s_mov_b32 s7, 0
	s_cmp_lg_u32 s1, 0
	s_cselect_b32 s0, s0, s2
	s_cselect_b32 s1, s9, s3
	s_add_u32 s20, s0, 1
	s_addc_u32 s21, s1, 0
	v_cmp_lt_u64_e64 s0, s[6:7], s[20:21]
	s_and_b32 vcc_lo, exec_lo, s0
	s_cbranch_vccnz .LBB0_2
; %bb.1:
	v_cvt_f32_u32_e32 v0, s20
	s_sub_i32 s1, 0, s20
	s_mov_b32 s23, s7
	v_rcp_iflag_f32_e32 v0, v0
	v_mul_f32_e32 v0, 0x4f7ffffe, v0
	v_cvt_u32_f32_e32 v0, v0
	v_readfirstlane_b32 s0, v0
	s_mul_i32 s1, s1, s0
	s_mul_hi_u32 s1, s0, s1
	s_add_i32 s0, s0, s1
	s_mul_hi_u32 s0, s6, s0
	s_mul_i32 s1, s0, s20
	s_add_i32 s2, s0, 1
	s_sub_i32 s1, s6, s1
	s_sub_i32 s3, s1, s20
	s_cmp_ge_u32 s1, s20
	s_cselect_b32 s0, s2, s0
	s_cselect_b32 s1, s3, s1
	s_add_i32 s2, s0, 1
	s_cmp_ge_u32 s1, s20
	s_cselect_b32 s22, s2, s0
.LBB0_2:
	s_load_dwordx4 s[0:3], s[14:15], 0x0
	s_clause 0x2
	s_load_dwordx4 s[8:11], s[4:5], 0x8
	s_load_dwordx2 s[16:17], s[4:5], 0x0
	s_load_dwordx2 s[4:5], s[4:5], 0x58
	s_mul_i32 s24, s22, s21
	s_mul_hi_u32 s25, s22, s20
	s_mul_i32 s26, s22, s20
	s_add_i32 s25, s25, s24
	s_sub_u32 s36, s6, s26
	s_subb_u32 s24, 0, s25
	s_mul_hi_u32 s33, s36, 7
	s_mul_i32 s24, s24, 7
	s_mul_i32 s36, s36, 7
	s_add_i32 s33, s33, s24
	s_waitcnt lgkmcnt(0)
	s_mul_i32 s24, s2, s33
	v_cmp_lt_u64_e64 s26, s[10:11], 3
	s_mul_hi_u32 s25, s2, s36
	s_mul_i32 s38, s2, s36
	s_add_i32 s24, s25, s24
	s_mul_i32 s25, s3, s36
	s_add_i32 s37, s24, s25
	s_and_b32 vcc_lo, exec_lo, s26
	s_cbranch_vccnz .LBB0_12
; %bb.3:
	s_add_u32 s24, s14, 16
	s_addc_u32 s25, s15, 0
	s_add_u32 s12, s12, 16
	s_addc_u32 s13, s13, 0
	s_mov_b64 s[26:27], 2
	s_mov_b32 s28, 0
.LBB0_4:                                ; =>This Inner Loop Header: Depth=1
	s_load_dwordx2 s[30:31], s[12:13], 0x0
	s_waitcnt lgkmcnt(0)
	s_or_b64 s[34:35], s[22:23], s[30:31]
	s_mov_b32 s29, s35
                                        ; implicit-def: $sgpr34_sgpr35
	s_cmp_lg_u64 s[28:29], 0
	s_mov_b32 s29, -1
	s_cbranch_scc0 .LBB0_6
; %bb.5:                                ;   in Loop: Header=BB0_4 Depth=1
	v_cvt_f32_u32_e32 v0, s30
	v_cvt_f32_u32_e32 v1, s31
	s_sub_u32 s35, 0, s30
	s_subb_u32 s39, 0, s31
	v_fmac_f32_e32 v0, 0x4f800000, v1
	v_rcp_f32_e32 v0, v0
	v_mul_f32_e32 v0, 0x5f7ffffc, v0
	v_mul_f32_e32 v1, 0x2f800000, v0
	v_trunc_f32_e32 v1, v1
	v_fmac_f32_e32 v0, 0xcf800000, v1
	v_cvt_u32_f32_e32 v1, v1
	v_cvt_u32_f32_e32 v0, v0
	v_readfirstlane_b32 s29, v1
	v_readfirstlane_b32 s34, v0
	s_mul_i32 s40, s35, s29
	s_mul_hi_u32 s42, s35, s34
	s_mul_i32 s41, s39, s34
	s_add_i32 s40, s42, s40
	s_mul_i32 s43, s35, s34
	s_add_i32 s40, s40, s41
	s_mul_hi_u32 s42, s34, s43
	s_mul_hi_u32 s44, s29, s43
	s_mul_i32 s41, s29, s43
	s_mul_hi_u32 s43, s34, s40
	s_mul_i32 s34, s34, s40
	s_mul_hi_u32 s45, s29, s40
	s_add_u32 s34, s42, s34
	s_addc_u32 s42, 0, s43
	s_add_u32 s34, s34, s41
	s_mul_i32 s40, s29, s40
	s_addc_u32 s34, s42, s44
	s_addc_u32 s41, s45, 0
	s_add_u32 s34, s34, s40
	s_addc_u32 s40, 0, s41
	v_add_co_u32 v0, s34, v0, s34
	s_cmp_lg_u32 s34, 0
	s_addc_u32 s29, s29, s40
	v_readfirstlane_b32 s34, v0
	s_mul_i32 s40, s35, s29
	s_mul_hi_u32 s41, s35, s34
	s_mul_i32 s39, s39, s34
	s_add_i32 s40, s41, s40
	s_mul_i32 s35, s35, s34
	s_add_i32 s40, s40, s39
	s_mul_hi_u32 s41, s29, s35
	s_mul_i32 s42, s29, s35
	s_mul_hi_u32 s35, s34, s35
	s_mul_hi_u32 s43, s34, s40
	s_mul_i32 s34, s34, s40
	s_mul_hi_u32 s39, s29, s40
	s_add_u32 s34, s35, s34
	s_addc_u32 s35, 0, s43
	s_add_u32 s34, s34, s42
	s_mul_i32 s40, s29, s40
	s_addc_u32 s34, s35, s41
	s_addc_u32 s35, s39, 0
	s_add_u32 s34, s34, s40
	s_addc_u32 s35, 0, s35
	v_add_co_u32 v0, s34, v0, s34
	s_cmp_lg_u32 s34, 0
	s_addc_u32 s29, s29, s35
	v_readfirstlane_b32 s34, v0
	s_mul_i32 s39, s22, s29
	s_mul_hi_u32 s35, s22, s29
	s_mul_hi_u32 s40, s23, s29
	s_mul_i32 s29, s23, s29
	s_mul_hi_u32 s41, s22, s34
	s_mul_hi_u32 s42, s23, s34
	s_mul_i32 s34, s23, s34
	s_add_u32 s39, s41, s39
	s_addc_u32 s35, 0, s35
	s_add_u32 s34, s39, s34
	s_addc_u32 s34, s35, s42
	s_addc_u32 s35, s40, 0
	s_add_u32 s34, s34, s29
	s_addc_u32 s35, 0, s35
	s_mul_hi_u32 s29, s30, s34
	s_mul_i32 s40, s30, s35
	s_mul_i32 s41, s30, s34
	s_add_i32 s29, s29, s40
	v_sub_co_u32 v0, s40, s22, s41
	s_mul_i32 s39, s31, s34
	s_add_i32 s29, s29, s39
	v_sub_co_u32 v1, s41, v0, s30
	s_sub_i32 s39, s23, s29
	s_cmp_lg_u32 s40, 0
	s_subb_u32 s39, s39, s31
	s_cmp_lg_u32 s41, 0
	v_readfirstlane_b32 s41, v1
	s_subb_u32 s39, s39, 0
	s_cmp_ge_u32 s39, s31
	s_cselect_b32 s42, -1, 0
	s_cmp_ge_u32 s41, s30
	s_cselect_b32 s41, -1, 0
	s_cmp_eq_u32 s39, s31
	s_cselect_b32 s39, s41, s42
	s_add_u32 s41, s34, 1
	s_addc_u32 s42, s35, 0
	s_add_u32 s43, s34, 2
	s_addc_u32 s44, s35, 0
	s_cmp_lg_u32 s39, 0
	s_cselect_b32 s39, s43, s41
	s_cselect_b32 s41, s44, s42
	s_cmp_lg_u32 s40, 0
	v_readfirstlane_b32 s40, v0
	s_subb_u32 s29, s23, s29
	s_cmp_ge_u32 s29, s31
	s_cselect_b32 s42, -1, 0
	s_cmp_ge_u32 s40, s30
	s_cselect_b32 s40, -1, 0
	s_cmp_eq_u32 s29, s31
	s_cselect_b32 s29, s40, s42
	s_cmp_lg_u32 s29, 0
	s_mov_b32 s29, 0
	s_cselect_b32 s35, s41, s35
	s_cselect_b32 s34, s39, s34
.LBB0_6:                                ;   in Loop: Header=BB0_4 Depth=1
	s_andn2_b32 vcc_lo, exec_lo, s29
	s_cbranch_vccnz .LBB0_8
; %bb.7:                                ;   in Loop: Header=BB0_4 Depth=1
	v_cvt_f32_u32_e32 v0, s30
	s_sub_i32 s34, 0, s30
	v_rcp_iflag_f32_e32 v0, v0
	v_mul_f32_e32 v0, 0x4f7ffffe, v0
	v_cvt_u32_f32_e32 v0, v0
	v_readfirstlane_b32 s29, v0
	s_mul_i32 s34, s34, s29
	s_mul_hi_u32 s34, s29, s34
	s_add_i32 s29, s29, s34
	s_mul_hi_u32 s29, s22, s29
	s_mul_i32 s34, s29, s30
	s_add_i32 s35, s29, 1
	s_sub_i32 s34, s22, s34
	s_sub_i32 s39, s34, s30
	s_cmp_ge_u32 s34, s30
	s_cselect_b32 s29, s35, s29
	s_cselect_b32 s34, s39, s34
	s_add_i32 s35, s29, 1
	s_cmp_ge_u32 s34, s30
	s_cselect_b32 s34, s35, s29
	s_mov_b32 s35, s28
.LBB0_8:                                ;   in Loop: Header=BB0_4 Depth=1
	s_load_dwordx2 s[40:41], s[24:25], 0x0
	s_mul_i32 s21, s30, s21
	s_mul_hi_u32 s29, s30, s20
	s_mul_i32 s39, s31, s20
	s_mul_i32 s31, s34, s31
	s_mul_hi_u32 s42, s34, s30
	s_mul_i32 s43, s35, s30
	s_add_i32 s21, s29, s21
	s_add_i32 s29, s42, s31
	s_mul_i32 s44, s34, s30
	s_add_i32 s21, s21, s39
	s_add_i32 s29, s29, s43
	s_sub_u32 s22, s22, s44
	s_subb_u32 s23, s23, s29
	s_mul_i32 s20, s30, s20
	s_waitcnt lgkmcnt(0)
	s_mul_i32 s23, s40, s23
	s_mul_hi_u32 s29, s40, s22
	s_add_i32 s23, s29, s23
	s_mul_i32 s29, s41, s22
	s_mul_i32 s22, s40, s22
	s_add_i32 s23, s23, s29
	s_add_u32 s38, s22, s38
	s_addc_u32 s37, s23, s37
	s_add_u32 s26, s26, 1
	s_addc_u32 s27, s27, 0
	s_add_u32 s24, s24, 8
	v_cmp_ge_u64_e64 s22, s[26:27], s[10:11]
	s_addc_u32 s25, s25, 0
	s_add_u32 s12, s12, 8
	s_addc_u32 s13, s13, 0
	s_and_b32 vcc_lo, exec_lo, s22
	s_cbranch_vccnz .LBB0_10
; %bb.9:                                ;   in Loop: Header=BB0_4 Depth=1
	s_mov_b64 s[22:23], s[34:35]
	s_branch .LBB0_4
.LBB0_10:
	v_cmp_lt_u64_e64 s7, s[6:7], s[20:21]
	s_mov_b64 s[22:23], 0
	s_and_b32 vcc_lo, exec_lo, s7
	s_cbranch_vccnz .LBB0_12
; %bb.11:
	v_cvt_f32_u32_e32 v0, s20
	s_sub_i32 s12, 0, s20
	v_rcp_iflag_f32_e32 v0, v0
	v_mul_f32_e32 v0, 0x4f7ffffe, v0
	v_cvt_u32_f32_e32 v0, v0
	v_readfirstlane_b32 s7, v0
	s_mul_i32 s12, s12, s7
	s_mul_hi_u32 s12, s7, s12
	s_add_i32 s7, s7, s12
	s_mul_hi_u32 s7, s6, s7
	s_mul_i32 s12, s7, s20
	s_sub_i32 s6, s6, s12
	s_add_i32 s12, s7, 1
	s_sub_i32 s13, s6, s20
	s_cmp_ge_u32 s6, s20
	s_cselect_b32 s7, s12, s7
	s_cselect_b32 s6, s13, s6
	s_add_i32 s12, s7, 1
	s_cmp_ge_u32 s6, s20
	s_cselect_b32 s22, s12, s7
.LBB0_12:
	s_lshl_b64 s[6:7], s[10:11], 3
	v_mul_u32_u24_e32 v0, 0x2493, v2
	s_add_u32 s6, s14, s6
	s_addc_u32 s7, s15, s7
	buffer_store_dword v2, off, s[64:67], 0 offset:4 ; 4-byte Folded Spill
	s_load_dwordx2 s[6:7], s[6:7], 0x0
	v_lshrrev_b32_e32 v0, 16, v0
                                        ; implicit-def: $vgpr7_vgpr8
                                        ; implicit-def: $vgpr11_vgpr12
                                        ; implicit-def: $vgpr15_vgpr16
                                        ; implicit-def: $vgpr19_vgpr20
                                        ; implicit-def: $vgpr23_vgpr24
                                        ; implicit-def: $vgpr27_vgpr28
                                        ; implicit-def: $vgpr31_vgpr32
                                        ; implicit-def: $vgpr39_vgpr40
                                        ; implicit-def: $vgpr59_vgpr60
                                        ; implicit-def: $vgpr63_vgpr64
                                        ; implicit-def: $vgpr67_vgpr68
                                        ; implicit-def: $vgpr43_vgpr44
                                        ; implicit-def: $vgpr51_vgpr52
                                        ; implicit-def: $vgpr55_vgpr56
                                        ; implicit-def: $vgpr47_vgpr48
                                        ; implicit-def: $vgpr35_vgpr36
                                        ; implicit-def: $vgpr3_vgpr4
	v_mul_lo_u16 v1, v0, 7
	v_sub_nc_u16 v1, v2, v1
	v_and_b32_e32 v124, 0xffff, v1
                                        ; kill: def $vgpr1_vgpr2 killed $sgpr0_sgpr1 killed $exec
	s_waitcnt lgkmcnt(0)
	s_mul_i32 s7, s7, s22
	s_mul_hi_u32 s10, s6, s22
	s_mul_i32 s6, s6, s22
	v_add_co_u32 v69, s11, s36, v124
	s_add_i32 s10, s10, s7
	v_add_co_ci_u32_e64 v70, null, s33, 0, s11
	s_add_u32 s6, s6, s38
	s_addc_u32 s7, s10, s37
	s_add_u32 s10, s36, 7
	s_addc_u32 s11, s33, 0
	v_cmp_gt_u64_e32 vcc_lo, s[18:19], v[69:70]
	v_cmp_le_u64_e64 s10, s[10:11], s[18:19]
	s_or_b32 s33, s10, vcc_lo
	s_and_saveexec_b32 s10, s33
	s_cbranch_execz .LBB0_14
; %bb.13:
	v_mad_u64_u32 v[1:2], null, s2, v124, 0
	v_mad_u64_u32 v[3:4], null, s0, v0, 0
	v_add_nc_u32_e32 v11, 17, v0
	v_add_nc_u32_e32 v13, 34, v0
	;; [unrolled: 1-line block ×3, first 2 shown]
	s_lshl_b64 s[12:13], s[6:7], 4
	v_add_nc_u32_e32 v16, 0x44, v0
	s_add_u32 s11, s4, s12
	v_mad_u64_u32 v[5:6], null, s3, v124, v[2:3]
	v_mad_u64_u32 v[6:7], null, s0, v11, 0
	s_addc_u32 s12, s5, s13
	v_add_nc_u32_e32 v17, 0x55, v0
	v_add_nc_u32_e32 v19, 0x66, v0
	;; [unrolled: 1-line block ×3, first 2 shown]
	v_mad_u64_u32 v[8:9], null, s1, v0, v[4:5]
	v_mov_b32_e32 v2, v5
	v_mov_b32_e32 v5, v7
	v_mad_u64_u32 v[9:10], null, s0, v13, 0
	v_add_nc_u32_e32 v24, 0xcc, v0
	v_lshlrev_b64 v[1:2], 4, v[1:2]
	v_mov_b32_e32 v4, v8
	v_mad_u64_u32 v[7:8], null, s1, v11, v[5:6]
	v_mad_u64_u32 v[11:12], null, s0, v15, 0
	v_lshlrev_b64 v[3:4], 4, v[3:4]
	v_add_co_u32 v72, vcc_lo, s11, v1
	v_add_co_ci_u32_e32 v73, vcc_lo, s12, v2, vcc_lo
	v_lshlrev_b64 v[5:6], 4, v[6:7]
	v_add_co_u32 v1, vcc_lo, v72, v3
	v_add_co_ci_u32_e32 v2, vcc_lo, v73, v4, vcc_lo
	v_mov_b32_e32 v3, v10
	v_mov_b32_e32 v4, v12
	v_add_nc_u32_e32 v25, 0xdd, v0
	v_add_nc_u32_e32 v30, 0xee, v0
	;; [unrolled: 1-line block ×4, first 2 shown]
	v_mad_u64_u32 v[7:8], null, s1, v13, v[3:4]
	v_mad_u64_u32 v[13:14], null, s0, v16, 0
	;; [unrolled: 1-line block ×3, first 2 shown]
	v_add_co_u32 v5, vcc_lo, v72, v5
	v_mov_b32_e32 v10, v7
	v_mad_u64_u32 v[7:8], null, s0, v17, 0
	v_mov_b32_e32 v4, v14
	v_add_co_ci_u32_e32 v6, vcc_lo, v73, v6, vcc_lo
	v_lshlrev_b64 v[9:10], 4, v[9:10]
	v_mov_b32_e32 v12, v3
	v_mad_u64_u32 v[14:15], null, s1, v16, v[4:5]
	s_clause 0x1
	global_load_dwordx4 v[1:4], v[1:2], off
	global_load_dwordx4 v[33:36], v[5:6], off
	v_mad_u64_u32 v[15:16], null, s0, v19, 0
	v_add_co_u32 v9, vcc_lo, v72, v9
	v_lshlrev_b64 v[5:6], 4, v[11:12]
	v_add_co_ci_u32_e32 v10, vcc_lo, v73, v10, vcc_lo
	v_mad_u64_u32 v[11:12], null, s1, v17, v[8:9]
	v_lshlrev_b64 v[12:13], 4, v[13:14]
	v_add_co_u32 v5, vcc_lo, v72, v5
	v_add_co_ci_u32_e32 v6, vcc_lo, v73, v6, vcc_lo
	v_mad_u64_u32 v[17:18], null, s0, v22, 0
	v_mov_b32_e32 v8, v11
	v_mov_b32_e32 v11, v16
	v_add_co_u32 v12, vcc_lo, v72, v12
	v_add_nc_u32_e32 v14, 0x88, v0
	v_lshlrev_b64 v[7:8], 4, v[7:8]
	v_add_co_ci_u32_e32 v13, vcc_lo, v73, v13, vcc_lo
	v_mad_u64_u32 v[19:20], null, s1, v19, v[11:12]
	v_mov_b32_e32 v11, v18
	v_mad_u64_u32 v[20:21], null, s0, v14, 0
	v_add_co_u32 v7, vcc_lo, v72, v7
	v_add_co_ci_u32_e32 v8, vcc_lo, v73, v8, vcc_lo
	v_mov_b32_e32 v16, v19
	v_mad_u64_u32 v[22:23], null, s1, v22, v[11:12]
	v_add_nc_u32_e32 v19, 0x99, v0
	s_clause 0x3
	global_load_dwordx4 v[45:48], v[9:10], off
	global_load_dwordx4 v[53:56], v[5:6], off
	;; [unrolled: 1-line block ×4, first 2 shown]
	v_lshlrev_b64 v[6:7], 4, v[15:16]
	v_mov_b32_e32 v5, v21
	v_mad_u64_u32 v[8:9], null, s0, v19, 0
	v_mov_b32_e32 v18, v22
	v_add_nc_u32_e32 v22, 0xaa, v0
	v_mad_u64_u32 v[10:11], null, s1, v14, v[5:6]
	v_add_co_u32 v5, vcc_lo, v72, v6
	v_add_co_ci_u32_e32 v6, vcc_lo, v73, v7, vcc_lo
	v_lshlrev_b64 v[11:12], 4, v[17:18]
	v_mov_b32_e32 v7, v9
	v_mad_u64_u32 v[13:14], null, s0, v22, 0
	v_mov_b32_e32 v21, v10
	v_mad_u64_u32 v[26:27], null, s0, v32, 0
	v_mad_u64_u32 v[9:10], null, s1, v19, v[7:8]
	v_add_co_u32 v10, vcc_lo, v72, v11
	v_add_co_ci_u32_e32 v11, vcc_lo, v73, v12, vcc_lo
	v_add_nc_u32_e32 v12, 0xbb, v0
	v_mov_b32_e32 v7, v14
	v_lshlrev_b64 v[15:16], 4, v[20:21]
	v_mad_u64_u32 v[28:29], null, s0, v37, 0
	v_mad_u64_u32 v[17:18], null, s0, v12, 0
	;; [unrolled: 1-line block ×3, first 2 shown]
	v_lshlrev_b64 v[7:8], 4, v[8:9]
	v_add_co_u32 v15, vcc_lo, v72, v15
	v_add_co_ci_u32_e32 v16, vcc_lo, v73, v16, vcc_lo
	v_mov_b32_e32 v9, v18
	v_mov_b32_e32 v14, v19
	v_mad_u64_u32 v[19:20], null, s0, v24, 0
	v_add_co_u32 v7, vcc_lo, v72, v7
	v_mad_u64_u32 v[21:22], null, s1, v12, v[9:10]
	v_mad_u64_u32 v[22:23], null, s0, v25, 0
	v_mov_b32_e32 v9, v20
	v_lshlrev_b64 v[12:13], 4, v[13:14]
	v_add_co_ci_u32_e32 v8, vcc_lo, v73, v8, vcc_lo
	v_mov_b32_e32 v18, v21
	v_mad_u64_u32 v[20:21], null, s1, v24, v[9:10]
	v_mov_b32_e32 v9, v23
	v_add_co_u32 v12, vcc_lo, v72, v12
	v_lshlrev_b64 v[17:18], 4, v[17:18]
	v_add_co_ci_u32_e32 v13, vcc_lo, v73, v13, vcc_lo
	v_mad_u64_u32 v[23:24], null, s1, v25, v[9:10]
	v_mad_u64_u32 v[24:25], null, s0, v30, 0
	v_lshlrev_b64 v[19:20], 4, v[19:20]
	v_add_co_u32 v17, vcc_lo, v72, v17
	v_mov_b32_e32 v14, v27
	v_lshlrev_b64 v[21:22], 4, v[22:23]
	v_add_co_ci_u32_e32 v18, vcc_lo, v73, v18, vcc_lo
	v_mov_b32_e32 v9, v25
	v_add_co_u32 v19, vcc_lo, v72, v19
	v_add_co_ci_u32_e32 v20, vcc_lo, v73, v20, vcc_lo
	v_mad_u64_u32 v[30:31], null, s1, v30, v[9:10]
	v_mov_b32_e32 v9, v29
	v_mad_u64_u32 v[31:32], null, s1, v32, v[14:15]
	v_add_co_u32 v70, vcc_lo, v72, v21
	v_add_co_ci_u32_e32 v71, vcc_lo, v73, v22, vcc_lo
	v_mad_u64_u32 v[21:22], null, s1, v37, v[9:10]
	v_mov_b32_e32 v25, v30
	v_mov_b32_e32 v27, v31
	s_clause 0x3
	global_load_dwordx4 v[65:68], v[5:6], off
	global_load_dwordx4 v[61:64], v[10:11], off
	;; [unrolled: 1-line block ×4, first 2 shown]
	v_lshlrev_b64 v[5:6], 4, v[24:25]
	v_mov_b32_e32 v29, v21
	v_lshlrev_b64 v[7:8], 4, v[26:27]
	v_add_co_u32 v5, vcc_lo, v72, v5
	v_lshlrev_b64 v[9:10], 4, v[28:29]
	v_add_co_ci_u32_e32 v6, vcc_lo, v73, v6, vcc_lo
	v_add_co_u32 v7, vcc_lo, v72, v7
	v_add_co_ci_u32_e32 v8, vcc_lo, v73, v8, vcc_lo
	v_add_co_u32 v72, vcc_lo, v72, v9
	v_add_co_ci_u32_e32 v73, vcc_lo, v73, v10, vcc_lo
	s_clause 0x6
	global_load_dwordx4 v[29:32], v[12:13], off
	global_load_dwordx4 v[25:28], v[17:18], off
	;; [unrolled: 1-line block ×7, first 2 shown]
.LBB0_14:
	s_or_b32 exec_lo, exec_lo, s10
	s_waitcnt vmcnt(15)
	v_add_f64 v[70:71], v[33:34], v[1:2]
	v_add_f64 v[72:73], v[35:36], v[3:4]
	s_waitcnt vmcnt(3)
	v_add_f64 v[108:109], v[17:18], v[49:50]
	v_add_f64 v[98:99], v[19:20], v[51:52]
	v_add_f64 v[110:111], v[49:50], -v[17:18]
	v_add_f64 v[100:101], v[51:52], -v[19:20]
	v_add_f64 v[102:103], v[21:22], v[41:42]
	v_add_f64 v[104:105], v[41:42], -v[21:22]
	s_waitcnt vmcnt(0)
	v_add_f64 v[126:127], v[7:8], v[35:36]
	v_add_f64 v[128:129], v[35:36], -v[7:8]
	v_add_f64 v[114:115], v[13:14], v[53:54]
	v_add_f64 v[106:107], v[15:16], v[55:56]
	v_add_f64 v[112:113], v[53:54], -v[13:14]
	v_add_f64 v[118:119], v[9:10], v[45:46]
	v_add_f64 v[116:117], v[45:46], -v[9:10]
	s_mov_b32 s12, 0x370991
	s_mov_b32 s10, 0x5d8e7cdc
	;; [unrolled: 1-line block ×7, first 2 shown]
	v_add_f64 v[76:77], v[45:46], v[70:71]
	v_add_f64 v[82:83], v[47:48], v[72:73]
	v_add_f64 v[45:46], v[47:48], -v[11:12]
	s_mov_b32 s54, 0x2a9d6da3
	s_mov_b32 s47, 0x3fe7a5f6
	;; [unrolled: 1-line block ×5, first 2 shown]
	v_add_f64 v[78:79], v[37:38], v[57:58]
	v_add_f64 v[70:71], v[39:40], v[59:60]
	v_add_f64 v[80:81], v[57:58], -v[37:38]
	v_add_f64 v[72:73], v[59:60], -v[39:40]
	buffer_store_dword v124, off, s[64:67], 0 ; 4-byte Folded Spill
	s_mov_b32 s14, 0x2b2883cd
	v_mul_f64 v[124:125], v[116:117], s[44:45]
	s_mov_b32 s24, 0x7c9e640b
	s_mov_b32 s42, 0x3259b75e
	s_mov_b32 s36, 0xc61f0d01
	s_mov_b32 s30, 0x6ed5f1bb
	s_mov_b32 s26, 0x910ea3b9
	s_mov_b32 s18, 0x7faef3
	s_mov_b32 s15, 0x3fdc86fa
	v_add_f64 v[120:121], v[53:54], v[76:77]
	v_add_f64 v[122:123], v[55:56], v[82:83]
	v_add_f64 v[53:54], v[55:56], -v[15:16]
	v_add_f64 v[55:56], v[11:12], v[47:48]
	v_add_f64 v[47:48], v[5:6], v[33:34]
	v_add_f64 v[33:34], v[33:34], -v[5:6]
	s_mov_b32 s25, 0x3feca52d
	s_mov_b32 s41, 0xbfeca52d
	s_mov_b32 s43, 0x3fb79ee6
	s_mov_b32 s37, 0xbfd183b1
	s_mov_b32 s31, 0xbfe348c8
	s_mov_b32 s27, 0xbfeb34fa
	s_mov_b32 s19, 0xbfef7484
	s_mov_b32 s40, s24
	v_add_f64 v[82:83], v[27:28], v[67:68]
	v_add_f64 v[84:85], v[67:68], -v[27:28]
	s_mov_b32 s60, 0xeb564b22
	s_mov_b32 s48, 0x923c349f
	;; [unrolled: 1-line block ×6, first 2 shown]
	v_add_f64 v[49:50], v[49:50], v[120:121]
	v_add_f64 v[51:52], v[51:52], v[122:123]
	v_mul_f64 v[122:123], v[118:119], s[46:47]
	v_mul_f64 v[120:121], v[112:113], s[40:41]
	;; [unrolled: 1-line block ×12, first 2 shown]
	v_fma_f64 v[224:225], v[55:56], s[46:47], v[124:125]
	s_mov_b32 s39, 0xbfefdd0d
	s_mov_b32 s49, 0x3feec746
	;; [unrolled: 1-line block ×7, first 2 shown]
	v_add_f64 v[35:36], v[41:42], v[49:50]
	v_add_f64 v[41:42], v[43:44], v[51:52]
	v_fma_f64 v[220:221], v[45:46], s[54:55], v[122:123]
	s_mov_b32 s57, 0x3fc7851a
	v_fma_f64 v[192:193], v[128:129], s[10:11], v[130:131]
	v_fma_f64 v[204:205], v[126:127], s[12:13], v[148:149]
	s_mov_b32 s23, 0xbfc7851a
	s_mov_b32 s38, s60
	;; [unrolled: 1-line block ×6, first 2 shown]
	v_add_f64 v[86:87], v[29:30], v[61:62]
	v_add_f64 v[74:75], v[31:32], v[63:64]
	v_add_f64 v[88:89], v[61:62], -v[29:30]
	v_add_f64 v[76:77], v[63:64], -v[31:32]
	v_add_f64 v[94:95], v[25:26], v[65:66]
	v_add_f64 v[96:97], v[65:66], -v[25:26]
	v_mul_f64 v[152:153], v[33:34], s[40:41]
	v_mul_f64 v[154:155], v[33:34], s[38:39]
	;; [unrolled: 1-line block ×4, first 2 shown]
	v_add_f64 v[35:36], v[65:66], v[35:36]
	v_add_f64 v[41:42], v[67:68], v[41:42]
	v_mul_f64 v[67:68], v[114:115], s[14:15]
	v_mul_f64 v[160:161], v[33:34], s[20:21]
	v_add_f64 v[192:193], v[1:2], v[192:193]
	v_add_f64 v[204:205], v[3:4], v[204:205]
	v_mul_f64 v[162:163], v[33:34], s[22:23]
	v_mul_f64 v[65:66], v[110:111], s[38:39]
	;; [unrolled: 1-line block ×3, first 2 shown]
	v_fma_f64 v[130:131], v[128:129], s[52:53], v[130:131]
	v_fma_f64 v[216:217], v[128:129], s[54:55], v[132:133]
	;; [unrolled: 1-line block ×12, first 2 shown]
	v_add_f64 v[90:91], v[23:24], v[43:44]
	v_add_f64 v[35:36], v[61:62], v[35:36]
	;; [unrolled: 1-line block ×3, first 2 shown]
	v_mul_f64 v[63:64], v[108:109], s[42:43]
	v_fma_f64 v[234:235], v[53:54], s[24:25], v[67:68]
	v_add_f64 v[192:193], v[220:221], v[192:193]
	v_add_f64 v[204:205], v[224:225], v[204:205]
	v_add_f64 v[92:93], v[43:44], -v[23:24]
	v_mul_f64 v[51:52], v[102:103], s[36:37]
	v_mul_f64 v[61:62], v[104:105], s[34:35]
	;; [unrolled: 1-line block ×6, first 2 shown]
	v_fma_f64 v[230:231], v[126:127], s[14:15], v[152:153]
	v_fma_f64 v[152:153], v[126:127], s[14:15], -v[152:153]
	v_fma_f64 v[232:233], v[126:127], s[42:43], v[154:155]
	v_fma_f64 v[154:155], v[126:127], s[42:43], -v[154:155]
	v_fma_f64 v[220:221], v[126:127], s[36:37], v[156:157]
	v_fma_f64 v[224:225], v[126:127], s[18:19], v[162:163]
	v_add_f64 v[216:217], v[1:2], v[216:217]
	v_fma_f64 v[240:241], v[55:56], s[42:43], v[164:165]
	v_fma_f64 v[242:243], v[98:99], s[42:43], v[65:66]
	v_add_f64 v[57:58], v[57:58], v[35:36]
	v_add_f64 v[59:60], v[59:60], v[146:147]
	v_mul_f64 v[146:147], v[118:119], s[42:43]
	v_mul_f64 v[49:50], v[96:97], s[28:29]
	v_add_f64 v[192:193], v[234:235], v[192:193]
	v_add_f64 v[204:205], v[236:237], v[204:205]
	v_mul_f64 v[170:171], v[108:109], s[18:19]
	v_mul_f64 v[172:173], v[110:111], s[22:23]
	;; [unrolled: 1-line block ×4, first 2 shown]
	v_add_f64 v[132:133], v[1:2], v[132:133]
	v_fma_f64 v[234:235], v[92:93], s[48:49], v[51:52]
	v_fma_f64 v[244:245], v[90:91], s[36:37], v[61:62]
	v_fma_f64 v[164:165], v[55:56], s[42:43], -v[164:165]
	v_fma_f64 v[236:237], v[45:46], s[58:59], v[186:187]
	v_add_f64 v[218:219], v[1:2], v[218:219]
	v_fma_f64 v[248:249], v[53:54], s[58:59], v[166:167]
	v_add_f64 v[230:231], v[3:4], v[230:231]
	v_fma_f64 v[250:251], v[106:107], s[30:31], v[168:169]
	v_mul_f64 v[47:48], v[94:95], s[30:31]
	v_mul_f64 v[43:44], v[88:89], s[20:21]
	;; [unrolled: 1-line block ×3, first 2 shown]
	v_add_f64 v[37:38], v[37:38], v[57:58]
	v_add_f64 v[39:40], v[39:40], v[59:60]
	v_fma_f64 v[238:239], v[45:46], s[60:61], v[146:147]
	v_fma_f64 v[146:147], v[45:46], s[38:39], v[146:147]
	v_mul_f64 v[176:177], v[104:105], s[50:51]
	v_add_f64 v[204:205], v[242:243], v[204:205]
	v_mul_f64 v[196:197], v[108:109], s[36:37]
	v_mul_f64 v[57:58], v[110:111], s[48:49]
	v_fma_f64 v[166:167], v[53:54], s[28:29], v[166:167]
	v_fma_f64 v[168:169], v[106:107], s[30:31], -v[168:169]
	v_fma_f64 v[242:243], v[53:54], s[22:23], v[190:191]
	v_mul_f64 v[41:42], v[86:87], s[26:27]
	v_mul_f64 v[35:36], v[80:81], s[22:23]
	;; [unrolled: 1-line block ×4, first 2 shown]
	v_add_f64 v[218:219], v[236:237], v[218:219]
	v_mul_f64 v[59:60], v[102:103], s[46:47]
	v_mul_f64 v[198:199], v[104:105], s[54:55]
	;; [unrolled: 1-line block ×4, first 2 shown]
	v_fma_f64 v[186:187], v[45:46], s[28:29], v[186:187]
	v_add_f64 v[152:153], v[3:4], v[152:153]
	v_add_f64 v[29:30], v[29:30], v[37:38]
	;; [unrolled: 1-line block ×3, first 2 shown]
	v_fma_f64 v[37:38], v[128:129], s[48:49], v[138:139]
	v_fma_f64 v[39:40], v[128:129], s[34:35], v[138:139]
	;; [unrolled: 1-line block ×4, first 2 shown]
	v_fma_f64 v[128:129], v[126:127], s[12:13], -v[148:149]
	v_fma_f64 v[148:149], v[126:127], s[46:47], v[150:151]
	v_fma_f64 v[150:151], v[126:127], s[46:47], -v[150:151]
	v_add_f64 v[216:217], v[238:239], v[216:217]
	v_fma_f64 v[238:239], v[55:56], s[30:31], v[188:189]
	v_add_f64 v[132:133], v[146:147], v[132:133]
	v_add_f64 v[204:205], v[244:245], v[204:205]
	v_fma_f64 v[146:147], v[74:75], s[26:27], v[43:44]
	v_fma_f64 v[236:237], v[90:91], s[26:27], v[176:177]
	;; [unrolled: 1-line block ×3, first 2 shown]
	v_add_f64 v[218:219], v[242:243], v[218:219]
	v_fma_f64 v[188:189], v[55:56], s[30:31], -v[188:189]
	v_fma_f64 v[252:253], v[98:99], s[36:37], -v[57:58]
	v_add_f64 v[57:58], v[1:2], v[134:135]
	v_mul_f64 v[33:34], v[78:79], s[18:19]
	v_mul_f64 v[184:185], v[88:89], s[24:25]
	v_add_f64 v[25:26], v[25:26], v[29:30]
	v_add_f64 v[27:28], v[27:28], v[31:32]
	v_fma_f64 v[29:30], v[126:127], s[36:37], -v[156:157]
	v_fma_f64 v[31:32], v[126:127], s[30:31], v[158:159]
	v_fma_f64 v[156:157], v[126:127], s[30:31], -v[158:159]
	v_fma_f64 v[158:159], v[126:127], s[26:27], v[160:161]
	v_fma_f64 v[160:161], v[126:127], s[26:27], -v[160:161]
	v_fma_f64 v[126:127], v[126:127], s[18:19], -v[162:163]
	v_fma_f64 v[162:163], v[100:101], s[60:61], v[63:64]
	v_add_f64 v[148:149], v[3:4], v[148:149]
	v_add_f64 v[150:151], v[3:4], v[150:151]
	v_add_f64 v[216:217], v[248:249], v[216:217]
	v_add_f64 v[230:231], v[238:239], v[230:231]
	v_add_f64 v[132:133], v[166:167], v[132:133]
	v_mul_f64 v[200:201], v[94:95], s[12:13]
	v_mul_f64 v[202:203], v[96:97], s[52:53]
	;; [unrolled: 1-line block ×4, first 2 shown]
	v_fma_f64 v[246:247], v[76:77], s[50:51], v[41:42]
	v_fma_f64 v[248:249], v[84:85], s[34:35], v[178:179]
	;; [unrolled: 1-line block ×3, first 2 shown]
	v_fma_f64 v[176:177], v[90:91], s[26:27], -v[176:177]
	v_add_f64 v[21:22], v[21:22], v[25:26]
	v_add_f64 v[23:24], v[23:24], v[27:28]
	v_fma_f64 v[27:28], v[82:83], s[30:31], v[49:50]
	v_fma_f64 v[25:26], v[84:85], s[58:59], v[47:48]
	;; [unrolled: 1-line block ×4, first 2 shown]
	v_add_f64 v[222:223], v[1:2], v[222:223]
	v_add_f64 v[152:153], v[188:189], v[152:153]
	;; [unrolled: 1-line block ×5, first 2 shown]
	v_fma_f64 v[164:165], v[92:93], s[20:21], v[174:175]
	v_fma_f64 v[240:241], v[70:71], s[18:19], v[35:36]
	v_fma_f64 v[174:175], v[92:93], s[50:51], v[174:175]
	v_mul_f64 v[182:183], v[86:87], s[14:15]
	v_mul_f64 v[214:215], v[108:109], s[12:13]
	v_fma_f64 v[192:193], v[72:73], s[56:57], v[33:34]
	v_fma_f64 v[166:167], v[74:75], s[14:15], v[184:185]
	;; [unrolled: 1-line block ×3, first 2 shown]
	v_fma_f64 v[180:181], v[82:83], s[36:37], -v[180:181]
	v_fma_f64 v[254:255], v[53:54], s[34:35], v[210:211]
	v_add_f64 v[156:157], v[3:4], v[156:157]
	v_add_f64 v[17:18], v[17:18], v[21:22]
	;; [unrolled: 1-line block ×3, first 2 shown]
	v_fma_f64 v[21:22], v[100:101], s[56:57], v[170:171]
	v_fma_f64 v[23:24], v[98:99], s[18:19], v[172:173]
	v_fma_f64 v[170:171], v[100:101], s[22:23], v[170:171]
	v_fma_f64 v[172:173], v[98:99], s[18:19], -v[172:173]
	v_add_f64 v[27:28], v[27:28], v[204:205]
	v_add_f64 v[204:205], v[1:2], v[39:40]
	;; [unrolled: 1-line block ×4, first 2 shown]
	v_fma_f64 v[234:235], v[106:107], s[18:19], v[194:195]
	v_add_f64 v[150:151], v[168:169], v[150:151]
	v_fma_f64 v[168:169], v[100:101], s[34:35], v[196:197]
	v_fma_f64 v[194:195], v[106:107], s[18:19], -v[194:195]
	v_fma_f64 v[196:197], v[100:101], s[48:49], v[196:197]
	v_add_f64 v[39:40], v[1:2], v[142:143]
	v_fma_f64 v[250:251], v[76:77], s[40:41], v[182:183]
	v_add_f64 v[138:139], v[1:2], v[138:139]
	v_add_f64 v[140:141], v[1:2], v[140:141]
	v_fma_f64 v[59:60], v[92:93], s[54:55], v[59:60]
	v_fma_f64 v[41:42], v[76:77], s[20:21], v[41:42]
	v_fma_f64 v[43:44], v[74:75], s[26:27], -v[43:44]
	v_add_f64 v[13:14], v[13:14], v[17:18]
	v_add_f64 v[15:16], v[15:16], v[19:20]
	;; [unrolled: 1-line block ×3, first 2 shown]
	v_fma_f64 v[216:217], v[90:91], s[46:47], v[198:199]
	v_add_f64 v[17:18], v[3:4], v[232:233]
	v_add_f64 v[132:133], v[170:171], v[132:133]
	;; [unrolled: 1-line block ×7, first 2 shown]
	v_fma_f64 v[230:231], v[45:46], s[56:57], v[206:207]
	v_fma_f64 v[234:235], v[55:56], s[18:19], v[208:209]
	v_add_f64 v[150:151], v[172:173], v[150:151]
	v_add_f64 v[168:169], v[168:169], v[218:219]
	;; [unrolled: 1-line block ×24, first 2 shown]
	v_mul_f64 v[150:151], v[88:89], s[38:39]
	v_mul_f64 v[158:159], v[110:111], s[10:11]
	v_add_f64 v[128:129], v[1:2], v[226:227]
	v_add_f64 v[31:32], v[1:2], v[228:229]
	v_fma_f64 v[160:161], v[100:101], s[52:53], v[214:215]
	v_mul_f64 v[168:169], v[78:79], s[12:13]
	v_mul_f64 v[170:171], v[80:81], s[10:11]
	v_add_f64 v[5:6], v[5:6], v[9:10]
	v_add_f64 v[7:8], v[7:8], v[11:12]
	;; [unrolled: 1-line block ×4, first 2 shown]
	v_fma_f64 v[9:10], v[84:85], s[10:11], v[200:201]
	v_add_f64 v[15:16], v[190:191], v[29:30]
	v_add_f64 v[29:30], v[3:4], v[126:127]
	;; [unrolled: 1-line block ×6, first 2 shown]
	v_fma_f64 v[11:12], v[82:83], s[12:13], v[202:203]
	v_mul_f64 v[146:147], v[86:87], s[42:43]
	v_fma_f64 v[152:153], v[106:107], s[36:37], v[212:213]
	v_add_f64 v[1:2], v[192:193], v[162:163]
	v_mul_f64 v[162:163], v[102:103], s[14:15]
	v_add_f64 v[132:133], v[178:179], v[132:133]
	v_fma_f64 v[172:173], v[76:77], s[24:25], v[182:183]
	v_fma_f64 v[174:175], v[90:91], s[46:47], -v[198:199]
	v_add_f64 v[142:143], v[180:181], v[142:143]
	v_fma_f64 v[176:177], v[74:75], s[14:15], -v[184:185]
	v_mul_f64 v[178:179], v[80:81], s[20:21]
	v_mul_f64 v[180:181], v[104:105], s[40:41]
	;; [unrolled: 1-line block ×3, first 2 shown]
	v_add_f64 v[13:14], v[250:251], v[13:14]
	v_add_f64 v[21:22], v[254:255], v[21:22]
	;; [unrolled: 1-line block ×4, first 2 shown]
	v_fma_f64 v[144:145], v[74:75], s[42:43], v[150:151]
	v_add_f64 v[126:127], v[252:253], v[126:127]
	v_fma_f64 v[184:185], v[72:73], s[52:53], v[168:169]
	v_add_f64 v[148:149], v[166:167], v[148:149]
	v_mul_f64 v[166:167], v[78:79], s[26:27]
	v_add_f64 v[11:12], v[11:12], v[134:135]
	v_fma_f64 v[134:135], v[76:77], s[60:61], v[146:147]
	v_add_f64 v[17:18], v[152:153], v[17:18]
	v_fma_f64 v[152:153], v[98:99], s[12:13], v[158:159]
	v_fma_f64 v[188:189], v[70:71], s[12:13], v[170:171]
	v_mul_f64 v[198:199], v[96:97], s[20:21]
	v_add_f64 v[132:133], v[172:173], v[132:133]
	v_fma_f64 v[172:173], v[45:46], s[22:23], v[206:207]
	v_fma_f64 v[168:169], v[72:73], s[10:11], v[168:169]
	v_add_f64 v[142:143], v[176:177], v[142:143]
	v_mul_f64 v[176:177], v[118:119], s[26:27]
	v_fma_f64 v[194:195], v[70:71], s[26:27], v[178:179]
	v_fma_f64 v[196:197], v[90:91], s[14:15], v[180:181]
	v_fma_f64 v[170:171], v[70:71], s[12:13], -v[170:171]
	v_add_f64 v[21:22], v[160:161], v[21:22]
	v_fma_f64 v[160:161], v[92:93], s[24:25], v[162:163]
	v_add_f64 v[15:16], v[59:60], v[15:16]
	v_fma_f64 v[59:60], v[84:85], s[52:53], v[200:201]
	v_add_f64 v[126:127], v[174:175], v[126:127]
	v_fma_f64 v[174:175], v[82:83], s[12:13], -v[202:203]
	v_mul_f64 v[190:191], v[116:117], s[50:51]
	v_fma_f64 v[192:193], v[72:73], s[50:51], v[166:167]
	v_add_f64 v[144:145], v[144:145], v[11:12]
	v_add_f64 v[134:135], v[134:135], v[9:10]
	v_fma_f64 v[146:147], v[76:77], s[38:39], v[146:147]
	v_add_f64 v[152:153], v[152:153], v[17:18]
	v_mul_f64 v[200:201], v[86:87], s[30:31]
	v_add_f64 v[13:14], v[184:185], v[13:14]
	v_fma_f64 v[184:185], v[55:56], s[18:19], -v[208:209]
	v_add_f64 v[172:173], v[172:173], v[19:20]
	v_fma_f64 v[202:203], v[53:54], s[48:49], v[210:211]
	v_fma_f64 v[150:151], v[74:75], s[42:43], -v[150:151]
	v_mul_f64 v[206:207], v[114:115], s[46:47]
	v_add_f64 v[9:10], v[168:169], v[132:133]
	v_mul_f64 v[168:169], v[88:89], s[58:59]
	v_add_f64 v[11:12], v[170:171], v[142:143]
	;; [unrolled: 2-line block ×3, first 2 shown]
	v_fma_f64 v[160:161], v[84:85], s[50:51], v[182:183]
	v_add_f64 v[59:60], v[59:60], v[15:16]
	v_add_f64 v[15:16], v[188:189], v[148:149]
	;; [unrolled: 1-line block ×3, first 2 shown]
	v_fma_f64 v[174:175], v[45:46], s[20:21], v[176:177]
	v_mul_f64 v[148:149], v[118:119], s[36:37]
	v_add_f64 v[19:20], v[194:195], v[144:145]
	v_add_f64 v[17:18], v[192:193], v[134:135]
	v_fma_f64 v[144:145], v[82:83], s[26:27], v[198:199]
	v_add_f64 v[134:135], v[196:197], v[152:153]
	v_mul_f64 v[152:153], v[116:117], s[48:49]
	v_fma_f64 v[132:133], v[55:56], s[26:27], v[190:191]
	v_add_f64 v[136:137], v[184:185], v[136:137]
	v_fma_f64 v[170:171], v[106:107], s[36:37], -v[212:213]
	v_add_f64 v[172:173], v[202:203], v[172:173]
	v_fma_f64 v[184:185], v[100:101], s[10:11], v[214:215]
	v_fma_f64 v[176:177], v[45:46], s[50:51], v[176:177]
	v_mul_f64 v[192:193], v[114:115], s[12:13]
	v_fma_f64 v[166:167], v[72:73], s[20:21], v[166:167]
	v_mul_f64 v[188:189], v[110:111], s[40:41]
	v_mul_f64 v[194:195], v[112:113], s[52:53]
	;; [unrolled: 1-line block ×3, first 2 shown]
	v_add_f64 v[21:22], v[160:161], v[21:22]
	v_add_f64 v[146:147], v[146:147], v[59:60]
	v_fma_f64 v[160:161], v[76:77], s[28:29], v[200:201]
	v_add_f64 v[59:60], v[150:151], v[126:127]
	v_add_f64 v[150:151], v[174:175], v[154:155]
	v_fma_f64 v[154:155], v[53:54], s[44:45], v[206:207]
	v_mul_f64 v[174:175], v[108:109], s[14:15]
	v_fma_f64 v[126:127], v[70:71], s[26:27], -v[178:179]
	v_fma_f64 v[178:179], v[55:56], s[26:27], -v[190:191]
	v_add_f64 v[134:135], v[144:145], v[134:135]
	v_fma_f64 v[144:145], v[45:46], s[34:35], v[148:149]
	v_fma_f64 v[190:191], v[55:56], s[36:37], v[152:153]
	v_add_f64 v[132:133], v[132:133], v[164:165]
	v_fma_f64 v[164:165], v[106:107], s[46:47], v[142:143]
	v_add_f64 v[136:137], v[170:171], v[136:137]
	v_add_f64 v[170:171], v[184:185], v[172:173]
	v_fma_f64 v[162:163], v[92:93], s[40:41], v[162:163]
	v_mul_f64 v[184:185], v[102:103], s[18:19]
	v_add_f64 v[176:177], v[176:177], v[204:205]
	v_fma_f64 v[202:203], v[53:54], s[54:55], v[206:207]
	v_fma_f64 v[142:143], v[106:107], s[46:47], -v[142:143]
	v_mul_f64 v[206:207], v[108:109], s[26:27]
	v_fma_f64 v[158:159], v[98:99], s[12:13], -v[158:159]
	v_mul_f64 v[172:173], v[80:81], s[54:55]
	v_add_f64 v[160:161], v[160:161], v[21:22]
	v_fma_f64 v[21:22], v[74:75], s[30:31], v[168:169]
	v_mul_f64 v[204:205], v[104:105], s[22:23]
	v_add_f64 v[150:151], v[154:155], v[150:151]
	v_fma_f64 v[154:155], v[100:101], s[24:25], v[174:175]
	v_mul_f64 v[208:209], v[110:111], s[20:21]
	v_add_f64 v[178:179], v[178:179], v[220:221]
	v_fma_f64 v[210:211], v[72:73], s[44:45], v[196:197]
	v_add_f64 v[138:139], v[144:145], v[138:139]
	v_add_f64 v[144:145], v[190:191], v[186:187]
	v_fma_f64 v[186:187], v[53:54], s[10:11], v[192:193]
	v_add_f64 v[132:133], v[164:165], v[132:133]
	v_fma_f64 v[164:165], v[98:99], s[14:15], v[188:189]
	v_fma_f64 v[190:191], v[106:107], s[12:13], v[194:195]
	v_add_f64 v[162:163], v[162:163], v[170:171]
	v_fma_f64 v[170:171], v[84:85], s[20:21], v[182:183]
	v_mul_f64 v[182:183], v[94:95], s[42:43]
	v_add_f64 v[176:177], v[202:203], v[176:177]
	v_fma_f64 v[174:175], v[100:101], s[40:41], v[174:175]
	v_mul_f64 v[212:213], v[96:97], s[60:61]
	v_add_f64 v[136:137], v[158:159], v[136:137]
	v_fma_f64 v[158:159], v[90:91], s[14:15], -v[180:181]
	v_fma_f64 v[180:181], v[70:71], s[46:47], v[172:173]
	v_add_f64 v[134:135], v[21:22], v[134:135]
	v_add_f64 v[21:22], v[166:167], v[146:147]
	v_fma_f64 v[146:147], v[100:101], s[50:51], v[206:207]
	v_add_f64 v[150:151], v[154:155], v[150:151]
	v_fma_f64 v[154:155], v[92:93], s[56:57], v[184:185]
	v_add_f64 v[142:143], v[142:143], v[178:179]
	v_fma_f64 v[178:179], v[98:99], s[14:15], -v[188:189]
	v_fma_f64 v[166:167], v[98:99], s[26:27], v[208:209]
	v_mul_f64 v[188:189], v[104:105], s[60:61]
	v_add_f64 v[138:139], v[186:187], v[138:139]
	v_mul_f64 v[186:187], v[102:103], s[42:43]
	v_add_f64 v[164:165], v[164:165], v[132:133]
	v_add_f64 v[144:145], v[190:191], v[144:145]
	;; [unrolled: 1-line block ×4, first 2 shown]
	v_fma_f64 v[148:149], v[45:46], s[48:49], v[148:149]
	v_fma_f64 v[152:153], v[55:56], s[36:37], -v[152:153]
	v_fma_f64 v[162:163], v[76:77], s[58:59], v[200:201]
	v_add_f64 v[170:171], v[174:175], v[176:177]
	v_fma_f64 v[174:175], v[92:93], s[22:23], v[184:185]
	v_mul_f64 v[190:191], v[94:95], s[46:47]
	v_add_f64 v[136:137], v[158:159], v[136:137]
	v_fma_f64 v[158:159], v[82:83], s[26:27], -v[198:199]
	v_add_f64 v[134:135], v[180:181], v[134:135]
	v_mul_f64 v[180:181], v[86:87], s[12:13]
	v_mul_f64 v[198:199], v[96:97], s[44:45]
	v_add_f64 v[150:151], v[154:155], v[150:151]
	v_fma_f64 v[154:155], v[84:85], s[38:39], v[182:183]
	v_add_f64 v[142:143], v[178:179], v[142:143]
	v_fma_f64 v[178:179], v[90:91], s[18:19], -v[204:205]
	v_fma_f64 v[202:203], v[90:91], s[18:19], v[204:205]
	v_add_f64 v[138:139], v[146:147], v[138:139]
	v_fma_f64 v[146:147], v[92:93], s[38:39], v[186:187]
	v_mul_f64 v[204:205], v[112:113], s[38:39]
	v_add_f64 v[144:145], v[166:167], v[144:145]
	v_fma_f64 v[166:167], v[90:91], s[42:43], v[188:189]
	v_mul_f64 v[112:113], v[112:113], s[20:21]
	v_add_f64 v[140:141], v[148:149], v[140:141]
	v_add_f64 v[148:149], v[152:153], v[156:157]
	v_fma_f64 v[152:153], v[53:54], s[52:53], v[192:193]
	v_add_f64 v[160:161], v[162:163], v[160:161]
	v_fma_f64 v[162:163], v[84:85], s[60:61], v[182:183]
	v_mul_f64 v[192:193], v[86:87], s[18:19]
	v_fma_f64 v[156:157], v[106:107], s[12:13], -v[194:195]
	v_add_f64 v[136:137], v[158:159], v[136:137]
	v_fma_f64 v[158:159], v[74:75], s[30:31], -v[168:169]
	v_mul_f64 v[168:169], v[118:119], s[14:15]
	v_mul_f64 v[194:195], v[88:89], s[22:23]
	;; [unrolled: 1-line block ×3, first 2 shown]
	v_add_f64 v[150:151], v[154:155], v[150:151]
	v_add_f64 v[154:155], v[174:175], v[170:171]
	v_mul_f64 v[170:171], v[116:117], s[24:25]
	v_add_f64 v[142:143], v[178:179], v[142:143]
	v_fma_f64 v[174:175], v[82:83], s[42:43], -v[212:213]
	v_add_f64 v[138:139], v[146:147], v[138:139]
	v_fma_f64 v[146:147], v[84:85], s[54:55], v[190:191]
	v_add_f64 v[164:165], v[202:203], v[164:165]
	v_add_f64 v[144:145], v[166:167], v[144:145]
	v_fma_f64 v[166:167], v[82:83], s[46:47], v[198:199]
	v_mul_f64 v[202:203], v[114:115], s[42:43]
	v_mul_f64 v[116:117], v[116:117], s[10:11]
	v_add_f64 v[140:141], v[152:153], v[140:141]
	v_fma_f64 v[152:153], v[100:101], s[20:21], v[206:207]
	v_mul_f64 v[114:115], v[114:115], s[26:27]
	v_fma_f64 v[176:177], v[82:83], s[42:43], v[212:213]
	v_add_f64 v[148:149], v[156:157], v[148:149]
	v_fma_f64 v[156:157], v[98:99], s[26:27], -v[208:209]
	v_mul_f64 v[184:185], v[88:89], s[52:53]
	v_mul_f64 v[182:183], v[78:79], s[30:31]
	v_add_f64 v[136:137], v[158:159], v[136:137]
	v_mul_f64 v[158:159], v[80:81], s[28:29]
	v_fma_f64 v[196:197], v[72:73], s[54:55], v[196:197]
	v_add_f64 v[154:155], v[162:163], v[154:155]
	v_fma_f64 v[200:201], v[55:56], s[14:15], v[170:171]
	v_fma_f64 v[162:163], v[45:46], s[40:41], v[168:169]
	v_add_f64 v[142:143], v[174:175], v[142:143]
	v_fma_f64 v[174:175], v[76:77], s[52:53], v[180:181]
	v_add_f64 v[138:139], v[146:147], v[138:139]
	v_fma_f64 v[146:147], v[76:77], s[56:57], v[192:193]
	v_fma_f64 v[168:169], v[45:46], s[24:25], v[168:169]
	v_add_f64 v[144:145], v[166:167], v[144:145]
	v_fma_f64 v[166:167], v[74:75], s[18:19], v[194:195]
	v_fma_f64 v[170:171], v[55:56], s[14:15], -v[170:171]
	v_add_f64 v[140:141], v[152:153], v[140:141]
	v_fma_f64 v[152:153], v[92:93], s[60:61], v[186:187]
	v_fma_f64 v[186:187], v[106:107], s[42:43], v[204:205]
	v_add_f64 v[164:165], v[176:177], v[164:165]
	v_add_f64 v[148:149], v[156:157], v[148:149]
	v_fma_f64 v[156:157], v[90:91], s[42:43], -v[188:189]
	v_mul_f64 v[188:189], v[108:109], s[30:31]
	v_mul_f64 v[108:109], v[108:109], s[46:47]
	v_fma_f64 v[176:177], v[76:77], s[10:11], v[180:181]
	v_fma_f64 v[178:179], v[74:75], s[12:13], v[184:185]
	v_fma_f64 v[180:181], v[74:75], s[12:13], -v[184:185]
	v_add_f64 v[130:131], v[200:201], v[130:131]
	v_add_f64 v[128:129], v[162:163], v[128:129]
	v_fma_f64 v[162:163], v[53:54], s[60:61], v[202:203]
	v_add_f64 v[154:155], v[174:175], v[154:155]
	v_mul_f64 v[174:175], v[110:111], s[58:59]
	v_add_f64 v[138:139], v[146:147], v[138:139]
	v_fma_f64 v[146:147], v[45:46], s[52:53], v[118:119]
	v_fma_f64 v[118:119], v[45:46], s[10:11], v[118:119]
	v_add_f64 v[144:145], v[166:167], v[144:145]
	v_fma_f64 v[166:167], v[55:56], s[12:13], v[116:117]
	v_fma_f64 v[116:117], v[55:56], s[12:13], -v[116:117]
	v_fma_f64 v[45:46], v[45:46], s[44:45], v[122:123]
	v_fma_f64 v[55:56], v[55:56], s[46:47], -v[124:125]
	v_add_f64 v[39:40], v[168:169], v[39:40]
	v_add_f64 v[57:58], v[170:171], v[57:58]
	v_fma_f64 v[168:169], v[106:107], s[42:43], -v[204:205]
	v_add_f64 v[148:149], v[156:157], v[148:149]
	v_mul_f64 v[156:157], v[104:105], s[52:53]
	v_mul_f64 v[110:111], v[110:111], s[54:55]
	v_add_f64 v[140:141], v[152:153], v[140:141]
	v_fma_f64 v[152:153], v[100:101], s[28:29], v[188:189]
	v_mul_f64 v[124:125], v[102:103], s[12:13]
	v_add_f64 v[130:131], v[186:187], v[130:131]
	v_mul_f64 v[102:103], v[102:103], s[30:31]
	v_add_f64 v[128:129], v[162:163], v[128:129]
	v_fma_f64 v[162:163], v[53:54], s[38:39], v[202:203]
	v_fma_f64 v[122:123], v[98:99], s[30:31], v[174:175]
	v_mul_f64 v[104:105], v[104:105], s[28:29]
	v_add_f64 v[31:32], v[146:147], v[31:32]
	v_fma_f64 v[146:147], v[53:54], s[50:51], v[114:115]
	v_add_f64 v[27:28], v[118:119], v[27:28]
	v_add_f64 v[37:38], v[166:167], v[37:38]
	v_fma_f64 v[166:167], v[106:107], s[26:27], v[112:113]
	v_add_f64 v[29:30], v[116:117], v[29:30]
	v_add_f64 v[25:26], v[55:56], v[25:26]
	v_fma_f64 v[114:115], v[53:54], s[20:21], v[114:115]
	v_fma_f64 v[112:113], v[106:107], s[26:27], -v[112:113]
	v_add_f64 v[23:24], v[45:46], v[23:24]
	v_fma_f64 v[45:46], v[53:54], s[40:41], v[67:68]
	v_fma_f64 v[53:54], v[106:107], s[14:15], -v[120:121]
	v_fma_f64 v[116:117], v[84:85], s[44:45], v[190:191]
	v_fma_f64 v[106:107], v[90:91], s[12:13], v[156:157]
	v_add_f64 v[57:58], v[168:169], v[57:58]
	v_fma_f64 v[67:68], v[92:93], s[10:11], v[124:125]
	v_fma_f64 v[120:121], v[100:101], s[58:59], v[188:189]
	v_fma_f64 v[118:119], v[82:83], s[46:47], -v[198:199]
	v_add_f64 v[128:129], v[152:153], v[128:129]
	v_add_f64 v[39:40], v[162:163], v[39:40]
	;; [unrolled: 1-line block ×3, first 2 shown]
	v_fma_f64 v[130:131], v[100:101], s[44:45], v[108:109]
	v_fma_f64 v[122:123], v[98:99], s[30:31], -v[174:175]
	v_add_f64 v[31:32], v[146:147], v[31:32]
	v_fma_f64 v[146:147], v[98:99], s[46:47], v[110:111]
	v_fma_f64 v[108:109], v[100:101], s[54:55], v[108:109]
	v_add_f64 v[37:38], v[166:167], v[37:38]
	v_fma_f64 v[110:111], v[98:99], s[46:47], -v[110:111]
	v_mul_f64 v[184:185], v[78:79], s[14:15]
	v_add_f64 v[27:28], v[114:115], v[27:28]
	v_add_f64 v[29:30], v[112:113], v[29:30]
	v_mul_f64 v[114:115], v[94:95], s[18:19]
	v_add_f64 v[23:24], v[45:46], v[23:24]
	v_add_f64 v[25:26], v[53:54], v[25:26]
	v_fma_f64 v[45:46], v[100:101], s[38:39], v[63:64]
	v_fma_f64 v[53:54], v[98:99], s[42:43], -v[65:66]
	v_add_f64 v[112:113], v[116:117], v[140:141]
	v_mul_f64 v[116:117], v[96:97], s[22:23]
	v_fma_f64 v[98:99], v[90:91], s[12:13], -v[156:157]
	v_fma_f64 v[100:101], v[92:93], s[58:59], v[102:103]
	v_mul_f64 v[94:95], v[94:95], s[14:15]
	v_mul_f64 v[96:97], v[96:97], s[24:25]
	v_add_f64 v[55:56], v[106:107], v[55:56]
	v_fma_f64 v[106:107], v[90:91], s[30:31], v[104:105]
	v_add_f64 v[57:58], v[122:123], v[57:58]
	v_add_f64 v[31:32], v[130:131], v[31:32]
	buffer_load_dword v131, off, s[64:67], 0 ; 4-byte Folded Reload
	v_fma_f64 v[102:103], v[92:93], s[28:29], v[102:103]
	v_add_f64 v[37:38], v[146:147], v[37:38]
	v_fma_f64 v[104:105], v[90:91], s[30:31], -v[104:105]
	v_add_f64 v[65:66], v[67:68], v[128:129]
	v_add_f64 v[27:28], v[108:109], v[27:28]
	;; [unrolled: 1-line block ×4, first 2 shown]
	v_fma_f64 v[67:68], v[92:93], s[52:53], v[124:125]
	v_add_f64 v[63:64], v[118:119], v[148:149]
	v_add_f64 v[23:24], v[45:46], v[23:24]
	;; [unrolled: 1-line block ×3, first 2 shown]
	v_fma_f64 v[45:46], v[92:93], s[34:35], v[51:52]
	v_fma_f64 v[51:52], v[90:91], s[36:37], -v[61:62]
	v_fma_f64 v[108:109], v[84:85], s[56:57], v[114:115]
	v_fma_f64 v[110:111], v[82:83], s[18:19], v[116:117]
	v_mul_f64 v[118:119], v[86:87], s[46:47]
	v_mul_f64 v[90:91], v[88:89], s[54:55]
	v_fma_f64 v[92:93], v[82:83], s[18:19], -v[116:117]
	v_mul_f64 v[86:87], v[86:87], s[36:37]
	v_add_f64 v[57:58], v[98:99], v[57:58]
	v_add_f64 v[31:32], v[100:101], v[31:32]
	v_fma_f64 v[98:99], v[84:85], s[40:41], v[94:95]
	v_fma_f64 v[100:101], v[82:83], s[14:15], v[96:97]
	v_add_f64 v[37:38], v[106:107], v[37:38]
	v_mul_f64 v[88:89], v[88:89], s[34:35]
	v_fma_f64 v[94:95], v[84:85], s[24:25], v[94:95]
	v_add_f64 v[27:28], v[102:103], v[27:28]
	v_add_f64 v[29:30], v[104:105], v[29:30]
	v_fma_f64 v[96:97], v[82:83], s[14:15], -v[96:97]
	v_add_f64 v[39:40], v[67:68], v[39:40]
	v_fma_f64 v[67:68], v[84:85], s[22:23], v[114:115]
	v_mul_f64 v[200:201], v[80:81], s[24:25]
	v_fma_f64 v[53:54], v[76:77], s[22:23], v[192:193]
	v_add_f64 v[23:24], v[45:46], v[23:24]
	v_add_f64 v[25:26], v[51:52], v[25:26]
	v_fma_f64 v[45:46], v[84:85], s[28:29], v[47:48]
	v_fma_f64 v[47:48], v[82:83], s[30:31], -v[49:50]
	v_add_f64 v[65:66], v[108:109], v[65:66]
	v_add_f64 v[55:56], v[110:111], v[55:56]
	v_fma_f64 v[102:103], v[76:77], s[44:45], v[118:119]
	v_fma_f64 v[49:50], v[74:75], s[46:47], v[90:91]
	v_mul_f64 v[51:52], v[78:79], s[36:37]
	v_mul_f64 v[82:83], v[80:81], s[34:35]
	v_add_f64 v[57:58], v[92:93], v[57:58]
	v_fma_f64 v[84:85], v[74:75], s[46:47], -v[90:91]
	v_add_f64 v[31:32], v[98:99], v[31:32]
	v_add_f64 v[37:38], v[100:101], v[37:38]
	v_fma_f64 v[90:91], v[76:77], s[48:49], v[86:87]
	v_fma_f64 v[92:93], v[74:75], s[36:37], v[88:89]
	v_mul_f64 v[78:79], v[78:79], s[42:43]
	v_mul_f64 v[80:81], v[80:81], s[60:61]
	v_fma_f64 v[61:62], v[74:75], s[18:19], -v[194:195]
	v_add_f64 v[27:28], v[94:95], v[27:28]
	v_add_f64 v[29:30], v[96:97], v[29:30]
	v_fma_f64 v[86:87], v[76:77], s[34:35], v[86:87]
	v_fma_f64 v[88:89], v[74:75], s[36:37], -v[88:89]
	v_add_f64 v[39:40], v[67:68], v[39:40]
	v_fma_f64 v[67:68], v[76:77], s[54:55], v[118:119]
	v_add_f64 v[23:24], v[45:46], v[23:24]
	v_add_f64 v[45:46], v[47:48], v[25:26]
	;; [unrolled: 1-line block ×4, first 2 shown]
	v_fma_f64 v[176:177], v[72:73], s[58:59], v[182:183]
	v_fma_f64 v[178:179], v[70:71], s[30:31], v[158:159]
	v_add_f64 v[142:143], v[180:181], v[142:143]
	v_fma_f64 v[180:181], v[72:73], s[28:29], v[182:183]
	v_fma_f64 v[182:183], v[72:73], s[40:41], v[184:185]
	;; [unrolled: 1-line block ×3, first 2 shown]
	v_add_f64 v[53:54], v[53:54], v[112:113]
	v_fma_f64 v[47:48], v[72:73], s[24:25], v[184:185]
	v_add_f64 v[65:66], v[102:103], v[65:66]
	v_add_f64 v[49:50], v[49:50], v[55:56]
	v_fma_f64 v[55:56], v[72:73], s[48:49], v[51:52]
	v_fma_f64 v[74:75], v[70:71], s[36:37], v[82:83]
	v_add_f64 v[57:58], v[84:85], v[57:58]
	v_add_f64 v[76:77], v[90:91], v[31:32]
	;; [unrolled: 1-line block ×3, first 2 shown]
	v_fma_f64 v[90:91], v[72:73], s[38:39], v[78:79]
	v_fma_f64 v[92:93], v[70:71], s[42:43], v[80:81]
	v_add_f64 v[61:62], v[61:62], v[63:64]
	v_fma_f64 v[63:64], v[70:71], s[14:15], -v[200:201]
	v_add_f64 v[27:28], v[86:87], v[27:28]
	v_add_f64 v[86:87], v[88:89], v[29:30]
	v_fma_f64 v[78:79], v[72:73], s[60:61], v[78:79]
	v_fma_f64 v[80:81], v[70:71], s[42:43], -v[80:81]
	v_add_f64 v[67:68], v[67:68], v[39:40]
	v_fma_f64 v[51:52], v[72:73], s[34:35], v[51:52]
	v_fma_f64 v[82:83], v[70:71], s[36:37], -v[82:83]
	v_fma_f64 v[158:159], v[70:71], s[30:31], -v[158:159]
	;; [unrolled: 1-line block ×3, first 2 shown]
	v_add_f64 v[96:97], v[41:42], v[23:24]
	v_add_f64 v[98:99], v[43:44], v[45:46]
	v_fma_f64 v[72:73], v[72:73], s[22:23], v[33:34]
	v_fma_f64 v[70:71], v[70:71], s[18:19], -v[35:36]
	v_add_f64 v[29:30], v[176:177], v[150:151]
	v_add_f64 v[31:32], v[178:179], v[164:165]
	;; [unrolled: 1-line block ×13, first 2 shown]
	v_mul_u32_u24_e32 v66, 0x770, v0
	v_add_f64 v[49:50], v[51:52], v[67:68]
	v_add_f64 v[51:52], v[82:83], v[57:58]
	;; [unrolled: 1-line block ×8, first 2 shown]
	s_waitcnt vmcnt(0)
	v_lshlrev_b32_e32 v61, 4, v131
	v_add3_u32 v66, 0, v66, v61
	ds_write_b128 v66, v[5:8]
	ds_write_b128 v66, v[1:4] offset:112
	ds_write_b128 v66, v[13:16] offset:224
	;; [unrolled: 1-line block ×16, first 2 shown]
	s_waitcnt lgkmcnt(0)
	s_waitcnt_vscnt null, 0x0
	s_barrier
	buffer_gl0_inv
	s_and_saveexec_b32 s62, s33
	s_cbranch_execz .LBB0_16
; %bb.15:
	v_mul_lo_u16 v1, v0, 31
	v_mov_b32_e32 v68, 4
	v_lshrrev_b16 v1, 9, v1
	v_mul_lo_u16 v1, v1, 17
	v_sub_nc_u16 v1, v0, v1
	v_mul_u32_u24_e32 v0, 0x70, v0
	v_and_b32_e32 v128, 0xff, v1
	v_add3_u32 v61, 0, v0, v61
	v_lshlrev_b32_e32 v62, 8, v128
	v_mul_lo_u32 v66, v69, v128
	v_add_nc_u32_e32 v67, 0x110, v128
	v_add_nc_u32_e32 v86, 0xff, v128
	s_clause 0xf
	global_load_dwordx4 v[1:4], v62, s[16:17] offset:112
	global_load_dwordx4 v[29:32], v62, s[16:17] offset:128
	;; [unrolled: 1-line block ×12, first 2 shown]
	global_load_dwordx4 v[41:44], v62, s[16:17]
	global_load_dwordx4 v[45:48], v62, s[16:17] offset:240
	global_load_dwordx4 v[49:52], v62, s[16:17] offset:16
	;; [unrolled: 1-line block ×3, first 2 shown]
	v_mul_lo_u32 v67, v69, v67
	v_bfe_u32 v70, v66, 8, 8
	v_lshlrev_b32_sdwa v66, v68, v66 dst_sel:DWORD dst_unused:UNUSED_PAD src0_sel:DWORD src1_sel:BYTE_0
	v_lshl_or_b32 v74, v70, 4, 0x1000
	v_bfe_u32 v78, v67, 8, 8
	s_clause 0x1
	global_load_dwordx4 v[70:73], v66, s[8:9]
	global_load_dwordx4 v[74:77], v74, s[8:9]
	v_lshlrev_b32_sdwa v66, v68, v67 dst_sel:DWORD dst_unused:UNUSED_PAD src0_sel:DWORD src1_sel:BYTE_0
	v_lshl_or_b32 v67, v78, 4, 0x1000
	s_clause 0x1
	global_load_dwordx4 v[78:81], v66, s[8:9]
	global_load_dwordx4 v[82:85], v67, s[8:9]
	v_mul_lo_u32 v66, v69, v86
	v_bfe_u32 v67, v66, 8, 8
	v_lshlrev_b32_sdwa v66, v68, v66 dst_sel:DWORD dst_unused:UNUSED_PAD src0_sel:DWORD src1_sel:BYTE_0
	v_lshl_or_b32 v67, v67, 4, 0x1000
	s_clause 0x1
	global_load_dwordx4 v[102:105], v66, s[8:9]
	global_load_dwordx4 v[112:115], v67, s[8:9]
	ds_read_b128 v[86:89], v61 offset:15232
	ds_read_b128 v[90:93], v61 offset:17136
	;; [unrolled: 1-line block ×5, first 2 shown]
	s_waitcnt vmcnt(21) lgkmcnt(4)
	v_mul_f64 v[66:67], v[86:87], v[3:4]
	v_mul_f64 v[3:4], v[88:89], v[3:4]
	s_waitcnt vmcnt(20) lgkmcnt(3)
	v_mul_f64 v[100:101], v[90:91], v[31:32]
	v_mul_f64 v[31:32], v[92:93], v[31:32]
	v_fma_f64 v[94:95], v[88:89], v[1:2], v[66:67]
	s_waitcnt vmcnt(19) lgkmcnt(2)
	v_mul_f64 v[66:67], v[96:97], v[27:28]
	v_mul_f64 v[27:28], v[98:99], v[27:28]
	v_fma_f64 v[110:111], v[86:87], v[1:2], -v[3:4]
	ds_read_b128 v[0:3], v61 offset:20944
	v_fma_f64 v[92:93], v[92:93], v[29:30], v[100:101]
	v_fma_f64 v[100:101], v[90:91], v[29:30], -v[31:32]
	s_waitcnt vmcnt(18) lgkmcnt(2)
	v_mul_f64 v[29:30], v[106:107], v[23:24]
	v_mul_f64 v[31:32], v[108:109], v[23:24]
	s_waitcnt vmcnt(17) lgkmcnt(1)
	v_mul_f64 v[86:87], v[116:117], v[19:20]
	v_mul_f64 v[88:89], v[118:119], v[19:20]
	v_fma_f64 v[122:123], v[98:99], v[25:26], v[66:67]
	v_fma_f64 v[129:130], v[96:97], v[25:26], -v[27:28]
	ds_read_b128 v[23:26], v61 offset:9520
	s_waitcnt vmcnt(16) lgkmcnt(1)
	v_mul_f64 v[66:67], v[0:1], v[15:16]
	v_mul_f64 v[90:91], v[2:3], v[15:16]
	v_fma_f64 v[96:97], v[108:109], v[21:22], v[29:30]
	v_fma_f64 v[98:99], v[106:107], v[21:22], -v[31:32]
	ds_read_b128 v[19:22], v61 offset:22848
	ds_read_b128 v[27:30], v61 offset:7616
	v_fma_f64 v[132:133], v[118:119], v[17:18], v[86:87]
	v_fma_f64 v[116:117], v[116:117], v[17:18], -v[88:89]
	ds_read_b128 v[15:18], v61 offset:24752
	s_waitcnt vmcnt(15) lgkmcnt(3)
	v_mul_f64 v[31:32], v[23:24], v[11:12]
	v_mul_f64 v[11:12], v[25:26], v[11:12]
	v_fma_f64 v[86:87], v[2:3], v[13:14], v[66:67]
	v_fma_f64 v[88:89], v[0:1], v[13:14], -v[90:91]
	ds_read_b128 v[0:3], v61 offset:5712
	s_waitcnt vmcnt(14) lgkmcnt(3)
	v_mul_f64 v[13:14], v[19:20], v[7:8]
	v_mul_f64 v[7:8], v[21:22], v[7:8]
	s_waitcnt vmcnt(13) lgkmcnt(2)
	v_mul_f64 v[66:67], v[27:28], v[35:36]
	v_mul_f64 v[35:36], v[29:30], v[35:36]
	v_fma_f64 v[136:137], v[25:26], v[9:10], v[31:32]
	v_fma_f64 v[140:141], v[23:24], v[9:10], -v[11:12]
	s_waitcnt vmcnt(12) lgkmcnt(1)
	v_mul_f64 v[23:24], v[15:16], v[55:56]
	v_mul_f64 v[25:26], v[17:18], v[55:56]
	s_waitcnt vmcnt(0)
	v_mul_f64 v[31:32], v[102:103], v[114:115]
	v_fma_f64 v[90:91], v[21:22], v[5:6], v[13:14]
	v_fma_f64 v[106:107], v[19:20], v[5:6], -v[7:8]
	ds_read_b128 v[4:7], v61 offset:26656
	ds_read_b128 v[8:11], v61 offset:3808
	v_fma_f64 v[142:143], v[29:30], v[33:34], v[66:67]
	v_fma_f64 v[144:145], v[27:28], v[33:34], -v[35:36]
	s_waitcnt lgkmcnt(2)
	v_mul_f64 v[27:28], v[0:1], v[59:60]
	v_mul_f64 v[29:30], v[2:3], v[59:60]
	ds_read_b128 v[19:22], v61 offset:28560
	v_fma_f64 v[66:67], v[17:18], v[53:54], v[23:24]
	v_fma_f64 v[108:109], v[15:16], v[53:54], -v[25:26]
	ds_read_b128 v[12:15], v61 offset:1904
	s_waitcnt lgkmcnt(3)
	v_mul_f64 v[16:17], v[4:5], v[39:40]
	v_mul_f64 v[23:24], v[6:7], v[39:40]
	v_add_nc_u32_e32 v18, 0xee, v128
	v_fma_f64 v[138:139], v[2:3], v[57:58], v[27:28]
	v_fma_f64 v[146:147], v[0:1], v[57:58], -v[29:30]
	ds_read_b128 v[0:3], v61 offset:30464
	ds_read_b128 v[33:36], v61
	v_mul_lo_u32 v18, v69, v18
	v_add_nc_u32_e32 v27, 0xdd, v128
	v_add_nc_u32_e32 v28, 0xcc, v128
	v_mul_f64 v[29:30], v[78:79], v[84:85]
	s_waitcnt lgkmcnt(2)
	v_mul_f64 v[25:26], v[12:13], v[43:44]
	v_fma_f64 v[148:149], v[6:7], v[37:38], v[16:17]
	v_fma_f64 v[150:151], v[4:5], v[37:38], -v[23:24]
	v_mul_f64 v[4:5], v[14:15], v[43:44]
	v_mul_f64 v[23:24], v[21:22], v[64:65]
	v_fma_f64 v[43:44], v[104:105], v[112:113], v[31:32]
	s_waitcnt lgkmcnt(1)
	v_mul_f64 v[16:17], v[2:3], v[47:48]
	v_mul_f64 v[6:7], v[0:1], v[47:48]
	v_fma_f64 v[57:58], v[80:81], v[82:83], v[29:30]
	v_fma_f64 v[224:225], v[14:15], v[41:42], v[25:26]
	v_bfe_u32 v25, v18, 8, 8
	v_mul_f64 v[14:15], v[19:20], v[64:65]
	v_fma_f64 v[194:195], v[12:13], v[41:42], -v[4:5]
	v_mul_f64 v[12:13], v[10:11], v[51:52]
	v_mul_f64 v[4:5], v[8:9], v[51:52]
	v_fma_f64 v[39:40], v[0:1], v[45:46], -v[16:17]
	v_mul_f64 v[16:17], v[70:71], v[76:77]
	v_fma_f64 v[37:38], v[2:3], v[45:46], v[6:7]
	v_lshl_or_b32 v6, v25, 4, 0x1000
	v_mul_f64 v[25:26], v[72:73], v[76:77]
	v_lshlrev_b32_sdwa v0, v68, v18 dst_sel:DWORD dst_unused:UNUSED_PAD src0_sel:DWORD src1_sel:BYTE_0
	v_mul_lo_u32 v18, v69, v28
	v_fma_f64 v[41:42], v[21:22], v[62:63], v[14:15]
	v_fma_f64 v[63:64], v[19:20], v[62:63], -v[23:24]
	v_bfe_u32 v19, v18, 8, 8
	v_fma_f64 v[134:135], v[8:9], v[49:50], -v[12:13]
	v_mul_lo_u32 v8, v69, v27
	v_fma_f64 v[76:77], v[10:11], v[49:50], v[4:5]
	v_fma_f64 v[16:17], v[72:73], v[74:75], v[16:17]
	s_clause 0x1
	global_load_dwordx4 v[0:3], v0, s[8:9]
	global_load_dwordx4 v[4:7], v6, s[8:9]
	v_mul_f64 v[27:28], v[80:81], v[84:85]
	v_lshl_or_b32 v20, v19, 4, 0x1000
	v_bfe_u32 v9, v8, 8, 8
	v_lshlrev_b32_sdwa v8, v68, v8 dst_sel:DWORD dst_unused:UNUSED_PAD src0_sel:DWORD src1_sel:BYTE_0
	v_lshl_or_b32 v12, v9, 4, 0x1000
	s_clause 0x1
	global_load_dwordx4 v[8:11], v8, s[8:9]
	global_load_dwordx4 v[12:15], v12, s[8:9]
	buffer_store_dword v16, off, s[64:67], 0 offset:104 ; 4-byte Folded Spill
	buffer_store_dword v17, off, s[64:67], 0 offset:108 ; 4-byte Folded Spill
	v_fma_f64 v[16:17], v[70:71], v[74:75], -v[25:26]
	v_add_nc_u32_e32 v26, 0xbb, v128
	v_mul_f64 v[24:25], v[104:105], v[114:115]
	v_fma_f64 v[61:62], v[78:79], v[82:83], -v[27:28]
	buffer_store_dword v16, off, s[64:67], 0 offset:88 ; 4-byte Folded Spill
	buffer_store_dword v17, off, s[64:67], 0 offset:92 ; 4-byte Folded Spill
	v_lshlrev_b32_sdwa v16, v68, v18 dst_sel:DWORD dst_unused:UNUSED_PAD src0_sel:DWORD src1_sel:BYTE_0
	s_clause 0x1
	global_load_dwordx4 v[16:19], v16, s[8:9]
	global_load_dwordx4 v[20:23], v20, s[8:9]
	v_mul_lo_u32 v26, v69, v26
	v_fma_f64 v[59:60], v[102:103], v[112:113], -v[24:25]
	v_bfe_u32 v27, v26, 8, 8
	v_lshlrev_b32_sdwa v26, v68, v26 dst_sel:DWORD dst_unused:UNUSED_PAD src0_sel:DWORD src1_sel:BYTE_0
	v_lshl_or_b32 v28, v27, 4, 0x1000
	s_clause 0x1
	global_load_dwordx4 v[24:27], v26, s[8:9]
	global_load_dwordx4 v[28:31], v28, s[8:9]
	s_waitcnt vmcnt(6)
	v_mul_f64 v[45:46], v[2:3], v[6:7]
	v_mul_f64 v[6:7], v[0:1], v[6:7]
	s_waitcnt vmcnt(4)
	v_mul_f64 v[47:48], v[10:11], v[14:15]
	v_fma_f64 v[45:46], v[0:1], v[4:5], -v[45:46]
	v_mul_f64 v[0:1], v[8:9], v[14:15]
	v_fma_f64 v[49:50], v[2:3], v[4:5], v[6:7]
	v_add_nc_u32_e32 v6, 0xaa, v128
	v_mul_lo_u32 v6, v69, v6
	v_fma_f64 v[55:56], v[8:9], v[12:13], -v[47:48]
	v_bfe_u32 v7, v6, 8, 8
	v_fma_f64 v[47:48], v[10:11], v[12:13], v[0:1]
	v_lshlrev_b32_sdwa v0, v68, v6 dst_sel:DWORD dst_unused:UNUSED_PAD src0_sel:DWORD src1_sel:BYTE_0
	v_lshl_or_b32 v6, v7, 4, 0x1000
	v_add_nc_u32_e32 v12, 0x99, v128
	s_waitcnt vmcnt(2)
	v_mul_f64 v[2:3], v[18:19], v[22:23]
	v_mul_f64 v[4:5], v[16:17], v[22:23]
	v_mul_lo_u32 v12, v69, v12
	v_bfe_u32 v13, v12, 8, 8
	v_lshlrev_b32_sdwa v12, v68, v12 dst_sel:DWORD dst_unused:UNUSED_PAD src0_sel:DWORD src1_sel:BYTE_0
	v_lshl_or_b32 v13, v13, 4, 0x1000
	s_waitcnt vmcnt(0)
	v_mul_f64 v[8:9], v[26:27], v[30:31]
	v_mul_f64 v[10:11], v[24:25], v[30:31]
	v_fma_f64 v[51:52], v[16:17], v[20:21], -v[2:3]
	v_fma_f64 v[112:113], v[18:19], v[20:21], v[4:5]
	s_clause 0x1
	global_load_dwordx4 v[0:3], v0, s[8:9]
	global_load_dwordx4 v[4:7], v6, s[8:9]
	v_fma_f64 v[118:119], v[24:25], v[28:29], -v[8:9]
	v_fma_f64 v[120:121], v[26:27], v[28:29], v[10:11]
	s_clause 0x1
	global_load_dwordx4 v[8:11], v12, s[8:9]
	global_load_dwordx4 v[12:15], v13, s[8:9]
	s_waitcnt vmcnt(2)
	v_mul_f64 v[20:21], v[2:3], v[6:7]
	v_mul_f64 v[6:7], v[0:1], v[6:7]
	s_waitcnt vmcnt(0)
	v_mul_f64 v[24:25], v[10:11], v[14:15]
	v_fma_f64 v[158:159], v[0:1], v[4:5], -v[20:21]
	v_fma_f64 v[160:161], v[2:3], v[4:5], v[6:7]
	v_mul_f64 v[0:1], v[8:9], v[14:15]
	v_add_nc_u32_e32 v2, 0x88, v128
	v_mul_lo_u32 v2, v69, v2
	v_bfe_u32 v3, v2, 8, 8
	v_lshlrev_b32_sdwa v2, v68, v2 dst_sel:DWORD dst_unused:UNUSED_PAD src0_sel:DWORD src1_sel:BYTE_0
	v_fma_f64 v[124:125], v[8:9], v[12:13], -v[24:25]
	v_lshl_or_b32 v4, v3, 4, 0x1000
	v_fma_f64 v[126:127], v[10:11], v[12:13], v[0:1]
	s_clause 0x1
	global_load_dwordx4 v[0:3], v2, s[8:9]
	global_load_dwordx4 v[4:7], v4, s[8:9]
	v_add_nc_u32_e32 v10, 0x77, v128
	v_mul_lo_u32 v10, v69, v10
	v_bfe_u32 v11, v10, 8, 8
	v_lshlrev_b32_sdwa v10, v68, v10 dst_sel:DWORD dst_unused:UNUSED_PAD src0_sel:DWORD src1_sel:BYTE_0
	v_lshl_or_b32 v11, v11, 4, 0x1000
	s_waitcnt vmcnt(0)
	v_mul_f64 v[8:9], v[2:3], v[6:7]
	v_mul_f64 v[6:7], v[0:1], v[6:7]
	v_fma_f64 v[0:1], v[0:1], v[4:5], -v[8:9]
	buffer_store_dword v0, off, s[64:67], 0 offset:208 ; 4-byte Folded Spill
	buffer_store_dword v1, off, s[64:67], 0 offset:212 ; 4-byte Folded Spill
	v_fma_f64 v[0:1], v[2:3], v[4:5], v[6:7]
	buffer_store_dword v0, off, s[64:67], 0 offset:232 ; 4-byte Folded Spill
	buffer_store_dword v1, off, s[64:67], 0 offset:236 ; 4-byte Folded Spill
	s_clause 0x1
	global_load_dwordx4 v[0:3], v10, s[8:9]
	global_load_dwordx4 v[4:7], v11, s[8:9]
	s_waitcnt vmcnt(0)
	v_mul_f64 v[8:9], v[2:3], v[6:7]
	v_fma_f64 v[8:9], v[0:1], v[4:5], -v[8:9]
	v_mul_f64 v[0:1], v[0:1], v[6:7]
	buffer_store_dword v8, off, s[64:67], 0 offset:136 ; 4-byte Folded Spill
	buffer_store_dword v9, off, s[64:67], 0 offset:140 ; 4-byte Folded Spill
	v_fma_f64 v[0:1], v[2:3], v[4:5], v[0:1]
	buffer_store_dword v0, off, s[64:67], 0 offset:240 ; 4-byte Folded Spill
	buffer_store_dword v1, off, s[64:67], 0 offset:244 ; 4-byte Folded Spill
	v_add_nc_u32_e32 v0, 0x66, v128
	v_mul_lo_u32 v0, v69, v0
	v_bfe_u32 v1, v0, 8, 8
	v_lshlrev_b32_sdwa v0, v68, v0 dst_sel:DWORD dst_unused:UNUSED_PAD src0_sel:DWORD src1_sel:BYTE_0
	v_lshl_or_b32 v4, v1, 4, 0x1000
	s_clause 0x1
	global_load_dwordx4 v[0:3], v0, s[8:9]
	global_load_dwordx4 v[4:7], v4, s[8:9]
	s_waitcnt vmcnt(0)
	v_mul_f64 v[8:9], v[2:3], v[6:7]
	v_fma_f64 v[8:9], v[0:1], v[4:5], -v[8:9]
	v_mul_f64 v[0:1], v[0:1], v[6:7]
	buffer_store_dword v8, off, s[64:67], 0 offset:128 ; 4-byte Folded Spill
	buffer_store_dword v9, off, s[64:67], 0 offset:132 ; 4-byte Folded Spill
	v_fma_f64 v[0:1], v[2:3], v[4:5], v[0:1]
	buffer_store_dword v0, off, s[64:67], 0 offset:160 ; 4-byte Folded Spill
	buffer_store_dword v1, off, s[64:67], 0 offset:164 ; 4-byte Folded Spill
	v_add_nc_u32_e32 v0, 0x55, v128
	v_mul_lo_u32 v0, v69, v0
	v_bfe_u32 v1, v0, 8, 8
	v_lshlrev_b32_sdwa v0, v68, v0 dst_sel:DWORD dst_unused:UNUSED_PAD src0_sel:DWORD src1_sel:BYTE_0
	v_lshl_or_b32 v4, v1, 4, 0x1000
	s_clause 0x1
	global_load_dwordx4 v[0:3], v0, s[8:9]
	global_load_dwordx4 v[4:7], v4, s[8:9]
	s_waitcnt vmcnt(0)
	v_mul_f64 v[8:9], v[0:1], v[6:7]
	v_fma_f64 v[8:9], v[2:3], v[4:5], v[8:9]
	v_mul_f64 v[2:3], v[2:3], v[6:7]
	buffer_store_dword v8, off, s[64:67], 0 offset:176 ; 4-byte Folded Spill
	buffer_store_dword v9, off, s[64:67], 0 offset:180 ; 4-byte Folded Spill
	v_fma_f64 v[0:1], v[0:1], v[4:5], -v[2:3]
	buffer_store_dword v0, off, s[64:67], 0 offset:144 ; 4-byte Folded Spill
	buffer_store_dword v1, off, s[64:67], 0 offset:148 ; 4-byte Folded Spill
	v_add_nc_u32_e32 v0, 0x44, v128
	v_mul_lo_u32 v0, v69, v0
	v_bfe_u32 v1, v0, 8, 8
	v_lshlrev_b32_sdwa v0, v68, v0 dst_sel:DWORD dst_unused:UNUSED_PAD src0_sel:DWORD src1_sel:BYTE_0
	v_lshl_or_b32 v4, v1, 4, 0x1000
	s_clause 0x1
	global_load_dwordx4 v[0:3], v0, s[8:9]
	global_load_dwordx4 v[4:7], v4, s[8:9]
	s_waitcnt vmcnt(0)
	v_mul_f64 v[8:9], v[0:1], v[6:7]
	v_fma_f64 v[8:9], v[2:3], v[4:5], v[8:9]
	v_mul_f64 v[2:3], v[2:3], v[6:7]
	buffer_store_dword v8, off, s[64:67], 0 offset:192 ; 4-byte Folded Spill
	buffer_store_dword v9, off, s[64:67], 0 offset:196 ; 4-byte Folded Spill
	v_fma_f64 v[0:1], v[0:1], v[4:5], -v[2:3]
	;; [unrolled: 17-line block ×4, first 2 shown]
	buffer_store_dword v0, off, s[64:67], 0 offset:184 ; 4-byte Folded Spill
	buffer_store_dword v1, off, s[64:67], 0 offset:188 ; 4-byte Folded Spill
	v_add_nc_u32_e32 v0, 17, v128
	v_mul_lo_u32 v0, v69, v0
	v_lshlrev_b32_sdwa v1, v68, v0 dst_sel:DWORD dst_unused:UNUSED_PAD src0_sel:DWORD src1_sel:BYTE_0
	v_bfe_u32 v0, v0, 8, 8
	v_lshl_or_b32 v4, v0, 4, 0x1000
	s_clause 0x1
	global_load_dwordx4 v[0:3], v1, s[8:9]
	global_load_dwordx4 v[4:7], v4, s[8:9]
	s_waitcnt vmcnt(0)
	v_mul_f64 v[8:9], v[0:1], v[6:7]
	v_fma_f64 v[8:9], v[2:3], v[4:5], v[8:9]
	v_mul_f64 v[2:3], v[2:3], v[6:7]
	buffer_store_dword v8, off, s[64:67], 0 offset:200 ; 4-byte Folded Spill
	buffer_store_dword v9, off, s[64:67], 0 offset:204 ; 4-byte Folded Spill
	v_fma_f64 v[0:1], v[0:1], v[4:5], -v[2:3]
	buffer_store_dword v0, off, s[64:67], 0 offset:96 ; 4-byte Folded Spill
	buffer_store_dword v1, off, s[64:67], 0 offset:100 ; 4-byte Folded Spill
	;; [unrolled: 1-line block ×4, first 2 shown]
	v_mov_b32_e32 v0, v39
	v_mov_b32_e32 v4, v41
	;; [unrolled: 1-line block ×4, first 2 shown]
	buffer_store_dword v0, off, s[64:67], 0 offset:256 ; 4-byte Folded Spill
	buffer_store_dword v1, off, s[64:67], 0 offset:260 ; 4-byte Folded Spill
	;; [unrolled: 1-line block ×6, first 2 shown]
	v_mov_b32_e32 v8, v134
	v_mov_b32_e32 v9, v135
	buffer_store_dword v63, off, s[64:67], 0 offset:272 ; 4-byte Folded Spill
	buffer_store_dword v64, off, s[64:67], 0 offset:276 ; 4-byte Folded Spill
	;; [unrolled: 1-line block ×4, first 2 shown]
	v_add_f64 v[53:54], v[224:225], v[37:38]
	v_add_f64 v[41:42], v[224:225], -v[37:38]
	v_add_f64 v[250:251], v[194:195], -v[0:1]
	v_add_f64 v[39:40], v[76:77], v[4:5]
	v_add_f64 v[30:31], v[76:77], -v[4:5]
	v_add_f64 v[254:255], v[194:195], v[0:1]
	v_mov_b32_e32 v4, v142
	v_mov_b32_e32 v5, v143
	v_add_f64 v[154:155], v[8:9], v[63:64]
	v_add_f64 v[134:135], v[8:9], -v[63:64]
	v_mul_f64 v[252:253], v[53:54], s[12:13]
	v_mul_f64 v[190:191], v[41:42], s[52:53]
	;; [unrolled: 1-line block ×7, first 2 shown]
	buffer_store_dword v6, off, s[64:67], 0 offset:304 ; 4-byte Folded Spill
	buffer_store_dword v7, off, s[64:67], 0 offset:308 ; 4-byte Folded Spill
	;; [unrolled: 1-line block ×4, first 2 shown]
	v_fma_f64 v[2:3], v[250:251], s[10:11], v[252:253]
	v_mul_f64 v[176:177], v[39:40], s[18:19]
	v_mul_f64 v[184:185], v[30:31], s[22:23]
	;; [unrolled: 1-line block ×5, first 2 shown]
	s_waitcnt lgkmcnt(0)
	v_add_f64 v[2:3], v[35:36], v[2:3]
	v_fma_f64 v[6:7], v[134:135], s[54:55], v[6:7]
	v_fma_f64 v[12:13], v[154:155], s[46:47], v[0:1]
	v_mov_b32_e32 v0, v138
	v_mov_b32_e32 v1, v139
	buffer_store_dword v0, off, s[64:67], 0 offset:472 ; 4-byte Folded Spill
	buffer_store_dword v1, off, s[64:67], 0 offset:476 ; 4-byte Folded Spill
	;; [unrolled: 1-line block ×8, first 2 shown]
	v_add_f64 v[2:3], v[6:7], v[2:3]
	v_fma_f64 v[6:7], v[254:255], s[12:13], v[190:191]
	v_add_f64 v[6:7], v[33:34], v[6:7]
	v_add_f64 v[6:7], v[12:13], v[6:7]
	;; [unrolled: 1-line block ×3, first 2 shown]
	v_add_f64 v[28:29], v[0:1], -v[148:149]
	v_add_f64 v[138:139], v[146:147], -v[150:151]
	v_add_f64 v[164:165], v[146:147], v[150:151]
	v_mul_f64 v[8:9], v[37:38], s[14:15]
	v_mul_f64 v[0:1], v[28:29], s[40:41]
	buffer_store_dword v8, off, s[64:67], 0 offset:320 ; 4-byte Folded Spill
	buffer_store_dword v9, off, s[64:67], 0 offset:324 ; 4-byte Folded Spill
	;; [unrolled: 1-line block ×12, first 2 shown]
	v_mul_f64 v[230:231], v[37:38], s[18:19]
	v_mul_f64 v[226:227], v[28:29], s[56:57]
	;; [unrolled: 1-line block ×6, first 2 shown]
	v_fma_f64 v[12:13], v[138:139], s[24:25], v[8:9]
	v_add_f64 v[26:27], v[4:5], v[66:67]
	v_add_f64 v[142:143], v[144:145], -v[108:109]
	v_add_f64 v[24:25], v[4:5], -v[66:67]
	v_add_f64 v[170:171], v[144:145], v[108:109]
	v_mul_f64 v[67:68], v[53:54], s[42:43]
	v_mul_f64 v[108:109], v[37:38], s[46:47]
	v_add_f64 v[2:3], v[12:13], v[2:3]
	v_fma_f64 v[12:13], v[164:165], s[14:15], v[0:1]
	v_mul_f64 v[0:1], v[26:27], s[42:43]
	buffer_store_dword v0, off, s[64:67], 0 offset:328 ; 4-byte Folded Spill
	buffer_store_dword v1, off, s[64:67], 0 offset:332 ; 4-byte Folded Spill
	v_add_f64 v[6:7], v[12:13], v[6:7]
	v_mul_f64 v[234:235], v[26:27], s[36:37]
	v_mul_f64 v[228:229], v[24:25], s[48:49]
	;; [unrolled: 1-line block ×5, first 2 shown]
	v_fma_f64 v[12:13], v[142:143], s[60:61], v[0:1]
	v_mul_f64 v[0:1], v[24:25], s[38:39]
	buffer_store_dword v0, off, s[64:67], 0 offset:392 ; 4-byte Folded Spill
	buffer_store_dword v1, off, s[64:67], 0 offset:396 ; 4-byte Folded Spill
	;; [unrolled: 1-line block ×6, first 2 shown]
	v_add_f64 v[2:3], v[12:13], v[2:3]
	buffer_store_dword v106, off, s[64:67], 0 offset:376 ; 4-byte Folded Spill
	buffer_store_dword v107, off, s[64:67], 0 offset:380 ; 4-byte Folded Spill
	;; [unrolled: 1-line block ×4, first 2 shown]
	v_fma_f64 v[12:13], v[170:171], s[42:43], v[0:1]
	v_add_f64 v[22:23], v[136:137], v[90:91]
	v_add_f64 v[20:21], v[136:137], -v[90:91]
	v_add_f64 v[146:147], v[140:141], -v[106:107]
	v_add_f64 v[178:179], v[140:141], v[106:107]
	v_mul_f64 v[105:106], v[53:54], s[46:47]
	v_add_f64 v[6:7], v[12:13], v[6:7]
	v_mul_f64 v[12:13], v[22:23], s[36:37]
	buffer_store_dword v12, off, s[64:67], 0 offset:336 ; 4-byte Folded Spill
	buffer_store_dword v13, off, s[64:67], 0 offset:340 ; 4-byte Folded Spill
	v_mul_f64 v[0:1], v[20:21], s[34:35]
	buffer_store_dword v0, off, s[64:67], 0 offset:408 ; 4-byte Folded Spill
	buffer_store_dword v1, off, s[64:67], 0 offset:412 ; 4-byte Folded Spill
	;; [unrolled: 1-line block ×10, first 2 shown]
	v_mul_f64 v[242:243], v[22:23], s[46:47]
	v_mul_f64 v[232:233], v[20:21], s[54:55]
	;; [unrolled: 1-line block ×4, first 2 shown]
	v_fma_f64 v[12:13], v[146:147], s[48:49], v[12:13]
	v_add_f64 v[2:3], v[12:13], v[2:3]
	v_fma_f64 v[12:13], v[178:179], s[36:37], v[0:1]
	v_add_f64 v[16:17], v[132:133], v[86:87]
	v_add_f64 v[18:19], v[132:133], -v[86:87]
	v_add_f64 v[150:151], v[116:117], -v[88:89]
	v_add_f64 v[182:183], v[116:117], v[88:89]
	v_mul_f64 v[132:133], v[26:27], s[14:15]
	v_mul_f64 v[87:88], v[22:23], s[18:19]
	v_add_f64 v[6:7], v[12:13], v[6:7]
	v_mul_f64 v[12:13], v[16:17], s[30:31]
	buffer_store_dword v12, off, s[64:67], 0 offset:344 ; 4-byte Folded Spill
	buffer_store_dword v13, off, s[64:67], 0 offset:348 ; 4-byte Folded Spill
	v_mul_f64 v[0:1], v[18:19], s[28:29]
	buffer_store_dword v0, off, s[64:67], 0 offset:416 ; 4-byte Folded Spill
	buffer_store_dword v1, off, s[64:67], 0 offset:420 ; 4-byte Folded Spill
	;; [unrolled: 1-line block ×10, first 2 shown]
	v_mul_f64 v[248:249], v[16:17], s[12:13]
	v_mul_f64 v[236:237], v[18:19], s[52:53]
	v_mul_f64 v[114:115], v[16:17], s[26:27]
	v_mul_f64 v[152:153], v[18:19], s[20:21]
	v_mul_f64 v[83:84], v[16:17], s[42:43]
	v_mul_f64 v[144:145], v[16:17], s[46:47]
	v_fma_f64 v[12:13], v[150:151], s[58:59], v[12:13]
	v_add_f64 v[2:3], v[12:13], v[2:3]
	v_fma_f64 v[12:13], v[182:183], s[30:31], v[0:1]
	v_add_f64 v[10:11], v[122:123], v[96:97]
	v_add_f64 v[14:15], v[122:123], -v[96:97]
	v_add_f64 v[156:157], v[129:130], -v[98:99]
	v_add_f64 v[186:187], v[129:130], v[98:99]
	v_mul_f64 v[129:130], v[22:23], s[14:15]
	v_mul_f64 v[97:98], v[24:25], s[40:41]
	v_add_f64 v[6:7], v[12:13], v[6:7]
	v_mul_f64 v[12:13], v[10:11], s[26:27]
	v_mul_f64 v[0:1], v[14:15], s[20:21]
	buffer_store_dword v12, off, s[64:67], 0 offset:360 ; 4-byte Folded Spill
	buffer_store_dword v13, off, s[64:67], 0 offset:364 ; 4-byte Folded Spill
	;; [unrolled: 1-line block ×12, first 2 shown]
	v_mul_f64 v[238:239], v[10:11], s[42:43]
	v_mul_f64 v[240:241], v[14:15], s[38:39]
	;; [unrolled: 1-line block ×5, first 2 shown]
	v_fma_f64 v[12:13], v[156:157], s[50:51], v[12:13]
	v_add_f64 v[8:9], v[94:95], -v[92:93]
	v_add_f64 v[172:173], v[110:111], v[100:101]
	v_add_f64 v[188:189], v[110:111], -v[100:101]
	v_mul_f64 v[99:100], v[39:40], s[26:27]
	v_mul_f64 v[101:102], v[28:29], s[54:55]
	;; [unrolled: 1-line block ×3, first 2 shown]
	v_add_f64 v[2:3], v[12:13], v[2:3]
	v_fma_f64 v[12:13], v[186:187], s[26:27], v[0:1]
	v_mul_f64 v[4:5], v[8:9], s[22:23]
	buffer_store_dword v4, off, s[64:67], 0 offset:400 ; 4-byte Folded Spill
	buffer_store_dword v5, off, s[64:67], 0 offset:404 ; 4-byte Folded Spill
	v_add_f64 v[6:7], v[12:13], v[6:7]
	v_mul_f64 v[244:245], v[8:9], s[20:21]
	v_mul_f64 v[136:137], v[8:9], s[54:55]
	v_mul_f64 v[89:90], v[8:9], s[28:29]
	v_fma_f64 v[12:13], v[172:173], s[18:19], v[4:5]
	v_add_f64 v[4:5], v[94:95], v[92:93]
	v_mul_f64 v[95:96], v[20:21], s[22:23]
	v_mul_f64 v[93:94], v[18:19], s[60:61]
	;; [unrolled: 1-line block ×3, first 2 shown]
	v_add_f64 v[6:7], v[12:13], v[6:7]
	v_mul_f64 v[0:1], v[4:5], s[18:19]
	buffer_store_dword v0, off, s[64:67], 0 offset:432 ; 4-byte Folded Spill
	buffer_store_dword v1, off, s[64:67], 0 offset:436 ; 4-byte Folded Spill
	v_mul_f64 v[246:247], v[4:5], s[26:27]
	v_mul_f64 v[116:117], v[4:5], s[46:47]
	;; [unrolled: 1-line block ×3, first 2 shown]
	v_fma_f64 v[12:13], v[188:189], s[56:57], v[0:1]
	v_add_f64 v[2:3], v[12:13], v[2:3]
	v_mul_f64 v[12:13], v[6:7], v[57:58]
	v_mul_f64 v[57:58], v[2:3], v[57:58]
	v_fma_f64 v[2:3], v[2:3], v[61:62], v[12:13]
	v_fma_f64 v[0:1], v[6:7], v[61:62], -v[57:58]
	buffer_store_dword v0, off, s[64:67], 0 offset:8 ; 4-byte Folded Spill
	buffer_store_dword v1, off, s[64:67], 0 offset:12 ; 4-byte Folded Spill
	;; [unrolled: 1-line block ×4, first 2 shown]
	v_mul_f64 v[0:1], v[39:40], s[42:43]
	buffer_store_dword v0, off, s[64:67], 0 offset:688 ; 4-byte Folded Spill
	buffer_store_dword v1, off, s[64:67], 0 offset:692 ; 4-byte Folded Spill
	v_fma_f64 v[2:3], v[250:251], s[54:55], v[105:106]
	v_mul_f64 v[57:58], v[41:42], s[40:41]
	v_mul_f64 v[61:62], v[18:19], s[44:45]
	v_fma_f64 v[105:106], v[250:251], s[44:45], v[105:106]
	v_add_f64 v[2:3], v[35:36], v[2:3]
	v_add_f64 v[105:106], v[35:36], v[105:106]
	v_fma_f64 v[6:7], v[134:135], s[60:61], v[0:1]
	v_mul_f64 v[0:1], v[30:31], s[38:39]
	buffer_store_dword v0, off, s[64:67], 0 offset:672 ; 4-byte Folded Spill
	buffer_store_dword v1, off, s[64:67], 0 offset:676 ; 4-byte Folded Spill
	v_add_f64 v[2:3], v[6:7], v[2:3]
	v_fma_f64 v[6:7], v[254:255], s[46:47], v[81:82]
	v_fma_f64 v[81:82], v[254:255], s[46:47], -v[81:82]
	v_add_f64 v[6:7], v[33:34], v[6:7]
	v_add_f64 v[81:82], v[33:34], v[81:82]
	v_fma_f64 v[12:13], v[154:155], s[42:43], v[0:1]
	v_mul_f64 v[0:1], v[37:38], s[30:31]
	buffer_store_dword v0, off, s[64:67], 0 offset:704 ; 4-byte Folded Spill
	buffer_store_dword v1, off, s[64:67], 0 offset:708 ; 4-byte Folded Spill
	v_add_f64 v[6:7], v[12:13], v[6:7]
	v_fma_f64 v[12:13], v[138:139], s[58:59], v[0:1]
	v_mul_f64 v[0:1], v[28:29], s[28:29]
	buffer_store_dword v0, off, s[64:67], 0 offset:656 ; 4-byte Folded Spill
	buffer_store_dword v1, off, s[64:67], 0 offset:660 ; 4-byte Folded Spill
	;; [unrolled: 5-line block ×12, first 2 shown]
	v_add_f64 v[6:7], v[12:13], v[6:7]
	v_fma_f64 v[12:13], v[188:189], s[52:53], v[0:1]
	v_add_f64 v[2:3], v[12:13], v[2:3]
	v_mul_f64 v[12:13], v[6:7], v[43:44]
	v_mul_f64 v[43:44], v[2:3], v[43:44]
	v_fma_f64 v[2:3], v[2:3], v[59:60], v[12:13]
	v_fma_f64 v[12:13], v[254:255], s[14:15], v[57:58]
	v_fma_f64 v[57:58], v[254:255], s[14:15], -v[57:58]
	v_fma_f64 v[0:1], v[6:7], v[59:60], -v[43:44]
	buffer_store_dword v0, off, s[64:67], 0 offset:24 ; 4-byte Folded Spill
	buffer_store_dword v1, off, s[64:67], 0 offset:28 ; 4-byte Folded Spill
	;; [unrolled: 1-line block ×4, first 2 shown]
	v_mul_f64 v[0:1], v[39:40], s[30:31]
	buffer_store_dword v0, off, s[64:67], 0 offset:720 ; 4-byte Folded Spill
	buffer_store_dword v1, off, s[64:67], 0 offset:724 ; 4-byte Folded Spill
	v_fma_f64 v[2:3], v[250:251], s[24:25], v[77:78]
	v_add_f64 v[12:13], v[33:34], v[12:13]
	v_mul_f64 v[59:60], v[14:15], s[22:23]
	v_fma_f64 v[77:78], v[250:251], s[40:41], v[77:78]
	v_add_f64 v[57:58], v[33:34], v[57:58]
	v_add_f64 v[2:3], v[35:36], v[2:3]
	;; [unrolled: 1-line block ×3, first 2 shown]
	v_fma_f64 v[6:7], v[134:135], s[58:59], v[0:1]
	v_mul_f64 v[0:1], v[30:31], s[28:29]
	buffer_store_dword v0, off, s[64:67], 0 offset:712 ; 4-byte Folded Spill
	buffer_store_dword v1, off, s[64:67], 0 offset:716 ; 4-byte Folded Spill
	v_add_f64 v[2:3], v[6:7], v[2:3]
	v_mul_f64 v[6:7], v[41:42], s[34:35]
	v_fma_f64 v[43:44], v[154:155], s[30:31], v[0:1]
	v_add_f64 v[12:13], v[43:44], v[12:13]
	v_fma_f64 v[43:44], v[138:139], s[22:23], v[230:231]
	v_add_f64 v[2:3], v[43:44], v[2:3]
	;; [unrolled: 2-line block ×13, first 2 shown]
	v_mul_f64 v[43:44], v[12:13], v[49:50]
	v_mul_f64 v[49:50], v[2:3], v[49:50]
	v_fma_f64 v[2:3], v[2:3], v[45:46], v[43:44]
	v_fma_f64 v[43:44], v[154:155], s[18:19], v[184:185]
	v_fma_f64 v[0:1], v[12:13], v[45:46], -v[49:50]
	buffer_store_dword v0, off, s[64:67], 0 offset:40 ; 4-byte Folded Spill
	buffer_store_dword v1, off, s[64:67], 0 offset:44 ; 4-byte Folded Spill
	;; [unrolled: 1-line block ×4, first 2 shown]
	v_fma_f64 v[2:3], v[250:251], s[60:61], v[67:68]
	v_fma_f64 v[12:13], v[134:135], s[56:57], v[176:177]
	v_mul_f64 v[49:50], v[41:42], s[38:39]
	v_fma_f64 v[67:68], v[250:251], s[38:39], v[67:68]
	v_add_f64 v[2:3], v[35:36], v[2:3]
	v_add_f64 v[67:68], v[35:36], v[67:68]
	;; [unrolled: 1-line block ×3, first 2 shown]
	v_fma_f64 v[12:13], v[254:255], s[42:43], v[49:50]
	v_fma_f64 v[49:50], v[254:255], s[42:43], -v[49:50]
	v_add_f64 v[12:13], v[33:34], v[12:13]
	v_add_f64 v[49:50], v[33:34], v[49:50]
	;; [unrolled: 1-line block ×3, first 2 shown]
	v_fma_f64 v[43:44], v[138:139], s[34:35], v[168:169]
	v_add_f64 v[2:3], v[43:44], v[2:3]
	v_fma_f64 v[43:44], v[164:165], s[36:37], v[180:181]
	v_add_f64 v[12:13], v[43:44], v[12:13]
	;; [unrolled: 2-line block ×12, first 2 shown]
	v_mul_f64 v[43:44], v[12:13], v[47:48]
	v_mul_f64 v[45:46], v[2:3], v[47:48]
	v_fma_f64 v[2:3], v[2:3], v[55:56], v[43:44]
	v_fma_f64 v[43:44], v[154:155], s[26:27], v[103:104]
	;; [unrolled: 1-line block ×3, first 2 shown]
	v_fma_f64 v[0:1], v[12:13], v[55:56], -v[45:46]
	buffer_store_dword v0, off, s[64:67], 0 offset:56 ; 4-byte Folded Spill
	buffer_store_dword v1, off, s[64:67], 0 offset:60 ; 4-byte Folded Spill
	;; [unrolled: 1-line block ×4, first 2 shown]
	v_fma_f64 v[2:3], v[250:251], s[48:49], v[192:193]
	v_fma_f64 v[12:13], v[134:135], s[20:21], v[99:100]
	v_mul_f64 v[55:56], v[22:23], s[42:43]
	v_add_f64 v[2:3], v[35:36], v[2:3]
	v_add_f64 v[2:3], v[12:13], v[2:3]
	v_fma_f64 v[12:13], v[254:255], s[36:37], v[6:7]
	v_fma_f64 v[6:7], v[254:255], s[36:37], -v[6:7]
	v_add_f64 v[12:13], v[33:34], v[12:13]
	v_add_f64 v[6:7], v[33:34], v[6:7]
	;; [unrolled: 1-line block ×3, first 2 shown]
	v_fma_f64 v[43:44], v[138:139], s[44:45], v[108:109]
	v_add_f64 v[2:3], v[43:44], v[2:3]
	v_fma_f64 v[43:44], v[164:165], s[46:47], v[101:102]
	v_add_f64 v[12:13], v[43:44], v[12:13]
	;; [unrolled: 2-line block ×12, first 2 shown]
	v_mul_f64 v[43:44], v[12:13], v[112:113]
	v_mul_f64 v[45:46], v[2:3], v[112:113]
	v_fma_f64 v[2:3], v[2:3], v[51:52], v[43:44]
	v_fma_f64 v[43:44], v[134:135], s[34:35], v[71:72]
	v_mul_f64 v[112:113], v[26:27], s[26:27]
	v_fma_f64 v[0:1], v[12:13], v[51:52], -v[45:46]
	v_mul_f64 v[45:46], v[53:54], s[30:31]
	buffer_store_dword v0, off, s[64:67], 0 offset:72 ; 4-byte Folded Spill
	buffer_store_dword v1, off, s[64:67], 0 offset:76 ; 4-byte Folded Spill
	;; [unrolled: 1-line block ×4, first 2 shown]
	v_fma_f64 v[12:13], v[250:251], s[58:59], v[45:46]
	v_mul_f64 v[2:3], v[41:42], s[28:29]
	v_fma_f64 v[51:52], v[146:147], s[38:39], v[55:56]
	v_fma_f64 v[45:46], v[250:251], s[28:29], v[45:46]
	v_add_f64 v[12:13], v[35:36], v[12:13]
	v_add_f64 v[45:46], v[35:36], v[45:46]
	;; [unrolled: 1-line block ×3, first 2 shown]
	v_fma_f64 v[43:44], v[254:255], s[30:31], v[2:3]
	v_fma_f64 v[2:3], v[254:255], s[30:31], -v[2:3]
	v_add_f64 v[43:44], v[33:34], v[43:44]
	v_add_f64 v[2:3], v[33:34], v[2:3]
	;; [unrolled: 1-line block ×3, first 2 shown]
	v_fma_f64 v[47:48], v[138:139], s[10:11], v[63:64]
	v_add_f64 v[12:13], v[47:48], v[12:13]
	v_fma_f64 v[47:48], v[164:165], s[12:13], v[73:74]
	v_add_f64 v[43:44], v[47:48], v[43:44]
	;; [unrolled: 2-line block ×4, first 2 shown]
	v_add_f64 v[43:44], v[47:48], v[43:44]
	v_fma_f64 v[51:52], v[178:179], s[42:43], v[65:66]
	v_mul_f64 v[47:48], v[4:5], s[14:15]
	v_add_f64 v[43:44], v[51:52], v[43:44]
	v_fma_f64 v[51:52], v[150:151], s[54:55], v[144:145]
	v_fma_f64 v[200:201], v[188:189], s[40:41], v[47:48]
	v_add_f64 v[12:13], v[51:52], v[12:13]
	v_fma_f64 v[51:52], v[182:183], s[46:47], v[61:62]
	v_add_f64 v[43:44], v[51:52], v[43:44]
	;; [unrolled: 2-line block ×3, first 2 shown]
	v_fma_f64 v[12:13], v[186:187], s[18:19], v[59:60]
	v_mul_f64 v[51:52], v[8:9], s[24:25]
	v_add_f64 v[122:123], v[200:201], v[122:123]
	v_add_f64 v[12:13], v[12:13], v[43:44]
	v_fma_f64 v[198:199], v[172:173], s[14:15], v[51:52]
	v_mul_f64 v[43:44], v[30:31], s[24:25]
	v_mul_f64 v[30:31], v[30:31], s[10:11]
	v_mul_f64 v[0:1], v[122:123], v[120:121]
	v_add_f64 v[198:199], v[198:199], v[12:13]
	v_mul_f64 v[12:13], v[53:54], s[26:27]
	v_fma_f64 v[206:207], v[154:155], s[14:15], v[43:44]
	v_mul_f64 v[200:201], v[198:199], v[120:121]
	v_fma_f64 v[120:121], v[122:123], v[118:119], v[200:201]
	v_fma_f64 v[118:119], v[198:199], v[118:119], -v[0:1]
	v_fma_f64 v[122:123], v[250:251], s[50:51], v[12:13]
	v_mul_f64 v[198:199], v[39:40], s[14:15]
	buffer_store_dword v118, off, s[64:67], 0 offset:112 ; 4-byte Folded Spill
	buffer_store_dword v119, off, s[64:67], 0 offset:116 ; 4-byte Folded Spill
	buffer_store_dword v120, off, s[64:67], 0 offset:120 ; 4-byte Folded Spill
	buffer_store_dword v121, off, s[64:67], 0 offset:124 ; 4-byte Folded Spill
	v_add_f64 v[122:123], v[35:36], v[122:123]
	v_fma_f64 v[200:201], v[134:135], s[40:41], v[198:199]
	v_mul_f64 v[120:121], v[24:25], s[58:59]
	v_mul_f64 v[39:40], v[39:40], s[12:13]
	;; [unrolled: 1-line block ×3, first 2 shown]
	v_fma_f64 v[12:13], v[250:251], s[20:21], v[12:13]
	v_add_f64 v[122:123], v[200:201], v[122:123]
	v_mul_f64 v[200:201], v[41:42], s[20:21]
	v_mul_f64 v[41:42], v[41:42], s[22:23]
	v_add_f64 v[12:13], v[35:36], v[12:13]
	v_fma_f64 v[202:203], v[254:255], s[26:27], v[200:201]
	v_add_f64 v[202:203], v[33:34], v[202:203]
	v_add_f64 v[202:203], v[206:207], v[202:203]
	v_mul_f64 v[206:207], v[37:38], s[42:43]
	v_mul_f64 v[37:38], v[37:38], s[26:27]
	v_fma_f64 v[208:209], v[138:139], s[60:61], v[206:207]
	v_add_f64 v[122:123], v[208:209], v[122:123]
	v_mul_f64 v[208:209], v[28:29], s[38:39]
	v_mul_f64 v[28:29], v[28:29], s[20:21]
	v_fma_f64 v[210:211], v[164:165], s[42:43], v[208:209]
	;; [unrolled: 4-line block ×3, first 2 shown]
	v_add_f64 v[118:119], v[118:119], v[122:123]
	v_fma_f64 v[122:123], v[170:171], s[30:31], v[120:121]
	v_add_f64 v[122:123], v[122:123], v[202:203]
	v_mul_f64 v[202:203], v[22:23], s[12:13]
	v_mul_f64 v[22:23], v[22:23], s[30:31]
	v_fma_f64 v[212:213], v[146:147], s[10:11], v[202:203]
	v_add_f64 v[118:119], v[212:213], v[118:119]
	v_mul_f64 v[212:213], v[20:21], s[52:53]
	v_mul_f64 v[20:21], v[20:21], s[28:29]
	;; [unrolled: 4-line block ×9, first 2 shown]
	v_fma_f64 v[160:161], v[118:119], v[158:159], v[222:223]
	v_fma_f64 v[118:119], v[134:135], s[52:53], v[39:40]
	;; [unrolled: 1-line block ×3, first 2 shown]
	v_fma_f64 v[158:159], v[122:123], v[158:159], -v[0:1]
	v_mul_f64 v[0:1], v[53:54], s[18:19]
	v_fma_f64 v[122:123], v[154:155], s[12:13], v[30:31]
	v_fma_f64 v[53:54], v[250:251], s[56:57], v[0:1]
	;; [unrolled: 1-line block ×3, first 2 shown]
	v_add_f64 v[53:54], v[35:36], v[53:54]
	v_add_f64 v[0:1], v[35:36], v[0:1]
	;; [unrolled: 1-line block ×3, first 2 shown]
	v_fma_f64 v[118:119], v[254:255], s[18:19], v[41:42]
	v_fma_f64 v[41:42], v[254:255], s[18:19], -v[41:42]
	v_add_f64 v[0:1], v[39:40], v[0:1]
	v_add_f64 v[118:119], v[33:34], v[118:119]
	;; [unrolled: 1-line block ×4, first 2 shown]
	v_fma_f64 v[122:123], v[138:139], s[50:51], v[37:38]
	v_add_f64 v[53:54], v[122:123], v[53:54]
	v_fma_f64 v[122:123], v[164:165], s[26:27], v[28:29]
	v_add_f64 v[118:119], v[122:123], v[118:119]
	v_fma_f64 v[122:123], v[142:143], s[44:45], v[26:27]
	v_fma_f64 v[26:27], v[142:143], s[54:55], v[26:27]
	v_add_f64 v[53:54], v[122:123], v[53:54]
	v_fma_f64 v[122:123], v[170:171], s[46:47], v[24:25]
	v_add_f64 v[118:119], v[122:123], v[118:119]
	v_fma_f64 v[122:123], v[146:147], s[58:59], v[22:23]
	v_fma_f64 v[22:23], v[146:147], s[28:29], v[22:23]
	v_add_f64 v[53:54], v[122:123], v[53:54]
	v_fma_f64 v[122:123], v[178:179], s[30:31], v[20:21]
	v_add_f64 v[118:119], v[122:123], v[118:119]
	v_fma_f64 v[122:123], v[150:151], s[40:41], v[16:17]
	v_fma_f64 v[16:17], v[150:151], s[24:25], v[16:17]
	v_add_f64 v[53:54], v[122:123], v[53:54]
	v_fma_f64 v[122:123], v[156:157], s[48:49], v[10:11]
	v_fma_f64 v[10:11], v[156:157], s[34:35], v[10:11]
	v_add_f64 v[53:54], v[122:123], v[53:54]
	v_fma_f64 v[122:123], v[182:183], s[14:15], v[18:19]
	v_add_f64 v[118:119], v[122:123], v[118:119]
	v_fma_f64 v[122:123], v[186:187], s[36:37], v[14:15]
	v_fma_f64 v[14:15], v[186:187], s[36:37], -v[14:15]
	v_add_f64 v[118:119], v[122:123], v[118:119]
	v_fma_f64 v[122:123], v[172:173], s[42:43], v[8:9]
	v_fma_f64 v[8:9], v[172:173], s[42:43], -v[8:9]
	v_add_f64 v[118:119], v[122:123], v[118:119]
	v_fma_f64 v[122:123], v[188:189], s[38:39], v[4:5]
	v_fma_f64 v[4:5], v[188:189], s[60:61], v[4:5]
	v_add_f64 v[53:54], v[122:123], v[53:54]
	v_mul_f64 v[122:123], v[118:119], v[126:127]
	v_mul_f64 v[222:223], v[53:54], v[126:127]
	v_fma_f64 v[126:127], v[53:54], v[124:125], v[122:123]
	v_fma_f64 v[53:54], v[254:255], s[26:27], -v[200:201]
	v_fma_f64 v[122:123], v[250:251], s[34:35], v[192:193]
	v_fma_f64 v[124:125], v[118:119], v[124:125], -v[222:223]
	v_fma_f64 v[118:119], v[254:255], s[12:13], -v[190:191]
	v_fma_f64 v[190:191], v[250:251], s[52:53], v[252:253]
	v_add_f64 v[53:54], v[33:34], v[53:54]
	v_add_f64 v[122:123], v[35:36], v[122:123]
	;; [unrolled: 1-line block ×6, first 2 shown]
	v_fma_f64 v[36:37], v[138:139], s[20:21], v[37:38]
	v_add_f64 v[0:1], v[36:37], v[0:1]
	v_add_f64 v[0:1], v[26:27], v[0:1]
	;; [unrolled: 1-line block ×4, first 2 shown]
	v_fma_f64 v[16:17], v[164:165], s[26:27], -v[28:29]
	v_add_f64 v[0:1], v[10:11], v[0:1]
	v_fma_f64 v[10:11], v[154:155], s[12:13], -v[30:31]
	v_add_f64 v[0:1], v[4:5], v[0:1]
	v_add_f64 v[10:11], v[10:11], v[41:42]
	v_fma_f64 v[4:5], v[134:135], s[24:25], v[198:199]
	v_add_f64 v[10:11], v[16:17], v[10:11]
	v_fma_f64 v[16:17], v[170:171], s[46:47], -v[24:25]
	v_add_f64 v[4:5], v[4:5], v[12:13]
	v_fma_f64 v[12:13], v[164:165], s[42:43], -v[208:209]
	v_fma_f64 v[24:25], v[164:165], s[18:19], -v[226:227]
	v_add_f64 v[10:11], v[16:17], v[10:11]
	v_fma_f64 v[16:17], v[178:179], s[30:31], -v[20:21]
	;; [unrolled: 3-line block ×3, first 2 shown]
	v_add_f64 v[10:11], v[16:17], v[10:11]
	v_fma_f64 v[16:17], v[138:139], s[54:55], v[108:109]
	v_add_f64 v[10:11], v[14:15], v[10:11]
	v_fma_f64 v[14:15], v[138:139], s[52:53], v[63:64]
	;; [unrolled: 2-line block ×7, first 2 shown]
	v_add_f64 v[4:5], v[10:11], v[4:5]
	v_fma_f64 v[10:11], v[154:155], s[14:15], -v[43:44]
	v_add_f64 v[10:11], v[10:11], v[53:54]
	v_add_f64 v[10:11], v[12:13], v[10:11]
	v_fma_f64 v[12:13], v[170:171], s[30:31], -v[120:121]
	v_add_f64 v[10:11], v[12:13], v[10:11]
	v_fma_f64 v[12:13], v[178:179], s[12:13], -v[212:213]
	;; [unrolled: 2-line block ×5, first 2 shown]
	v_add_f64 v[10:11], v[12:13], v[10:11]
	v_fma_f64 v[12:13], v[188:189], s[34:35], v[196:197]
	v_add_f64 v[4:5], v[12:13], v[4:5]
	v_fma_f64 v[12:13], v[134:135], s[48:49], v[71:72]
	v_add_f64 v[12:13], v[12:13], v[45:46]
	v_add_f64 v[12:13], v[14:15], v[12:13]
	v_fma_f64 v[14:15], v[142:143], s[20:21], v[112:113]
	v_add_f64 v[12:13], v[14:15], v[12:13]
	v_fma_f64 v[14:15], v[146:147], s[60:61], v[55:56]
	;; [unrolled: 2-line block ×4, first 2 shown]
	v_add_f64 v[12:13], v[14:15], v[12:13]
	v_fma_f64 v[14:15], v[154:155], s[36:37], -v[75:76]
	v_add_f64 v[2:3], v[14:15], v[2:3]
	v_fma_f64 v[14:15], v[164:165], s[12:13], -v[73:74]
	;; [unrolled: 2-line block ×7, first 2 shown]
	v_add_f64 v[14:15], v[14:15], v[2:3]
	v_fma_f64 v[2:3], v[188:189], s[24:25], v[47:48]
	v_add_f64 v[12:13], v[2:3], v[12:13]
	v_fma_f64 v[2:3], v[134:135], s[50:51], v[99:100]
	v_add_f64 v[2:3], v[2:3], v[122:123]
	v_add_f64 v[2:3], v[16:17], v[2:3]
	v_fma_f64 v[16:17], v[142:143], s[40:41], v[132:133]
	v_add_f64 v[2:3], v[16:17], v[2:3]
	v_fma_f64 v[16:17], v[146:147], s[22:23], v[87:88]
	;; [unrolled: 2-line block ×4, first 2 shown]
	v_add_f64 v[2:3], v[16:17], v[2:3]
	v_fma_f64 v[16:17], v[154:155], s[26:27], -v[103:104]
	v_add_f64 v[6:7], v[16:17], v[6:7]
	v_fma_f64 v[16:17], v[164:165], s[46:47], -v[101:102]
	;; [unrolled: 2-line block ×7, first 2 shown]
	v_add_f64 v[16:17], v[16:17], v[6:7]
	v_fma_f64 v[6:7], v[188:189], s[28:29], v[85:86]
	v_add_f64 v[18:19], v[6:7], v[2:3]
	v_fma_f64 v[2:3], v[134:135], s[22:23], v[176:177]
	v_fma_f64 v[6:7], v[138:139], s[48:49], v[168:169]
	v_add_f64 v[2:3], v[2:3], v[67:68]
	v_add_f64 v[2:3], v[6:7], v[2:3]
	v_fma_f64 v[6:7], v[142:143], s[10:11], v[162:163]
	v_add_f64 v[2:3], v[6:7], v[2:3]
	v_fma_f64 v[6:7], v[146:147], s[40:41], v[129:130]
	;; [unrolled: 2-line block ×3, first 2 shown]
	v_add_f64 v[2:3], v[6:7], v[2:3]
	v_fma_f64 v[6:7], v[154:155], s[18:19], -v[184:185]
	v_add_f64 v[6:7], v[6:7], v[49:50]
	v_add_f64 v[6:7], v[20:21], v[6:7]
	v_fma_f64 v[20:21], v[170:171], s[12:13], -v[174:175]
	v_add_f64 v[6:7], v[20:21], v[6:7]
	v_fma_f64 v[20:21], v[178:179], s[14:15], -v[166:167]
	;; [unrolled: 2-line block ×3, first 2 shown]
	v_add_f64 v[6:7], v[20:21], v[6:7]
	v_fma_f64 v[20:21], v[156:157], s[58:59], v[148:149]
	v_add_f64 v[2:3], v[20:21], v[2:3]
	v_fma_f64 v[20:21], v[186:187], s[30:31], -v[140:141]
	v_add_f64 v[6:7], v[20:21], v[6:7]
	v_fma_f64 v[20:21], v[172:173], s[46:47], -v[136:137]
	v_add_f64 v[20:21], v[20:21], v[6:7]
	v_fma_f64 v[6:7], v[188:189], s[54:55], v[116:117]
	v_add_f64 v[22:23], v[6:7], v[2:3]
	s_clause 0x1
	buffer_load_dword v2, off, s[64:67], 0 offset:720
	buffer_load_dword v3, off, s[64:67], 0 offset:724
	v_fma_f64 v[6:7], v[138:139], s[56:57], v[230:231]
	s_waitcnt vmcnt(0)
	v_fma_f64 v[2:3], v[134:135], s[28:29], v[2:3]
	v_add_f64 v[2:3], v[2:3], v[77:78]
	v_add_f64 v[2:3], v[6:7], v[2:3]
	v_fma_f64 v[6:7], v[142:143], s[48:49], v[234:235]
	v_add_f64 v[2:3], v[6:7], v[2:3]
	v_fma_f64 v[6:7], v[146:147], s[54:55], v[242:243]
	;; [unrolled: 2-line block ×3, first 2 shown]
	v_add_f64 v[2:3], v[6:7], v[2:3]
	s_clause 0x1
	buffer_load_dword v6, off, s[64:67], 0 offset:712
	buffer_load_dword v7, off, s[64:67], 0 offset:716
	s_waitcnt vmcnt(0)
	v_fma_f64 v[6:7], v[154:155], s[30:31], -v[6:7]
	v_add_f64 v[6:7], v[6:7], v[57:58]
	v_add_f64 v[6:7], v[24:25], v[6:7]
	v_fma_f64 v[24:25], v[170:171], s[36:37], -v[228:229]
	v_add_f64 v[6:7], v[24:25], v[6:7]
	v_fma_f64 v[24:25], v[178:179], s[46:47], -v[232:233]
	;; [unrolled: 2-line block ×3, first 2 shown]
	v_add_f64 v[6:7], v[24:25], v[6:7]
	v_fma_f64 v[24:25], v[156:157], s[38:39], v[238:239]
	v_add_f64 v[2:3], v[24:25], v[2:3]
	v_fma_f64 v[24:25], v[186:187], s[42:43], -v[240:241]
	v_add_f64 v[6:7], v[24:25], v[6:7]
	v_fma_f64 v[24:25], v[172:173], s[26:27], -v[244:245]
	v_add_f64 v[24:25], v[24:25], v[6:7]
	v_fma_f64 v[6:7], v[188:189], s[20:21], v[246:247]
	v_add_f64 v[26:27], v[6:7], v[2:3]
	s_clause 0x7
	buffer_load_dword v2, off, s[64:67], 0 offset:464
	buffer_load_dword v3, off, s[64:67], 0 offset:468
	;; [unrolled: 1-line block ×8, first 2 shown]
	s_waitcnt vmcnt(6)
	v_add_f64 v[2:3], v[32:33], v[2:3]
	s_waitcnt vmcnt(4)
	v_add_f64 v[6:7], v[34:35], v[6:7]
	s_waitcnt vmcnt(2)
	v_fma_f64 v[28:29], v[134:135], s[38:39], v[28:29]
	s_waitcnt vmcnt(0)
	v_add_f64 v[2:3], v[2:3], v[30:31]
	s_clause 0x1
	buffer_load_dword v30, off, s[64:67], 0 offset:472
	buffer_load_dword v31, off, s[64:67], 0 offset:476
	v_add_f64 v[28:29], v[28:29], v[105:106]
	s_waitcnt vmcnt(0)
	v_add_f64 v[6:7], v[6:7], v[30:31]
	s_clause 0x1
	buffer_load_dword v30, off, s[64:67], 0 offset:704
	buffer_load_dword v31, off, s[64:67], 0 offset:708
	s_waitcnt vmcnt(0)
	v_fma_f64 v[30:31], v[138:139], s[28:29], v[30:31]
	v_add_f64 v[28:29], v[30:31], v[28:29]
	s_clause 0x1
	buffer_load_dword v30, off, s[64:67], 0 offset:496
	buffer_load_dword v31, off, s[64:67], 0 offset:500
	s_waitcnt vmcnt(0)
	v_add_f64 v[2:3], v[2:3], v[30:31]
	s_clause 0x1
	buffer_load_dword v30, off, s[64:67], 0 offset:488
	buffer_load_dword v31, off, s[64:67], 0 offset:492
	s_waitcnt vmcnt(0)
	;; [unrolled: 5-line block ×3, first 2 shown]
	v_fma_f64 v[30:31], v[142:143], s[22:23], v[30:31]
	v_add_f64 v[28:29], v[30:31], v[28:29]
	s_clause 0x1
	buffer_load_dword v30, off, s[64:67], 0 offset:528
	buffer_load_dword v31, off, s[64:67], 0 offset:532
	s_waitcnt vmcnt(0)
	v_add_f64 v[2:3], v[2:3], v[30:31]
	s_clause 0x1
	buffer_load_dword v30, off, s[64:67], 0 offset:520
	buffer_load_dword v31, off, s[64:67], 0 offset:524
	s_waitcnt vmcnt(0)
	v_add_f64 v[6:7], v[6:7], v[30:31]
	s_clause 0x3
	buffer_load_dword v30, off, s[64:67], 0 offset:672
	buffer_load_dword v31, off, s[64:67], 0 offset:676
	;; [unrolled: 1-line block ×4, first 2 shown]
	s_waitcnt vmcnt(2)
	v_fma_f64 v[30:31], v[154:155], s[42:43], -v[30:31]
	s_waitcnt vmcnt(0)
	v_add_f64 v[2:3], v[2:3], v[32:33]
	s_clause 0x1
	buffer_load_dword v32, off, s[64:67], 0 offset:536
	buffer_load_dword v33, off, s[64:67], 0 offset:540
	v_add_f64 v[30:31], v[30:31], v[81:82]
	s_waitcnt vmcnt(0)
	v_add_f64 v[6:7], v[6:7], v[32:33]
	s_clause 0x1
	buffer_load_dword v32, off, s[64:67], 0 offset:656
	buffer_load_dword v33, off, s[64:67], 0 offset:660
	s_waitcnt vmcnt(0)
	v_fma_f64 v[32:33], v[164:165], s[30:31], -v[32:33]
	v_add_f64 v[30:31], v[32:33], v[30:31]
	s_clause 0x1
	buffer_load_dword v32, off, s[64:67], 0 offset:568
	buffer_load_dword v33, off, s[64:67], 0 offset:572
	s_waitcnt vmcnt(0)
	v_add_f64 v[2:3], v[2:3], v[32:33]
	s_clause 0x1
	buffer_load_dword v32, off, s[64:67], 0 offset:552
	buffer_load_dword v33, off, s[64:67], 0 offset:556
	s_waitcnt vmcnt(0)
	;; [unrolled: 5-line block ×3, first 2 shown]
	v_fma_f64 v[32:33], v[170:171], s[18:19], -v[32:33]
	v_add_f64 v[30:31], v[32:33], v[30:31]
	s_clause 0x1
	buffer_load_dword v32, off, s[64:67], 0 offset:592
	buffer_load_dword v33, off, s[64:67], 0 offset:596
	s_waitcnt vmcnt(0)
	v_add_f64 v[2:3], v[2:3], v[32:33]
	s_clause 0x1
	buffer_load_dword v32, off, s[64:67], 0 offset:584
	buffer_load_dword v33, off, s[64:67], 0 offset:588
	s_waitcnt vmcnt(0)
	v_add_f64 v[6:7], v[6:7], v[32:33]
	s_clause 0x1
	buffer_load_dword v32, off, s[64:67], 0 offset:664
	buffer_load_dword v33, off, s[64:67], 0 offset:668
	s_waitcnt vmcnt(0)
	v_fma_f64 v[32:33], v[146:147], s[50:51], v[32:33]
	v_add_f64 v[28:29], v[32:33], v[28:29]
	s_clause 0x3
	buffer_load_dword v32, off, s[64:67], 0 offset:352
	buffer_load_dword v33, off, s[64:67], 0 offset:356
	;; [unrolled: 1-line block ×4, first 2 shown]
	s_waitcnt vmcnt(2)
	v_fma_f64 v[32:33], v[154:155], s[46:47], -v[32:33]
	s_waitcnt vmcnt(0)
	v_add_f64 v[2:3], v[2:3], v[34:35]
	s_clause 0x1
	buffer_load_dword v34, off, s[64:67], 0 offset:560
	buffer_load_dword v35, off, s[64:67], 0 offset:564
	v_add_f64 v[32:33], v[32:33], v[118:119]
	s_waitcnt vmcnt(0)
	v_add_f64 v[6:7], v[6:7], v[34:35]
	s_clause 0x1
	buffer_load_dword v34, off, s[64:67], 0 offset:648
	buffer_load_dword v35, off, s[64:67], 0 offset:652
	s_waitcnt vmcnt(0)
	v_fma_f64 v[34:35], v[178:179], s[26:27], -v[34:35]
	v_add_f64 v[30:31], v[34:35], v[30:31]
	s_clause 0x5
	buffer_load_dword v34, off, s[64:67], 0 offset:304
	buffer_load_dword v35, off, s[64:67], 0 offset:308
	;; [unrolled: 1-line block ×6, first 2 shown]
	s_waitcnt vmcnt(4)
	v_fma_f64 v[34:35], v[134:135], s[44:45], v[34:35]
	s_waitcnt vmcnt(2)
	v_fma_f64 v[36:37], v[164:165], s[14:15], -v[36:37]
	s_waitcnt vmcnt(0)
	v_add_f64 v[2:3], v[2:3], v[38:39]
	s_clause 0x1
	buffer_load_dword v38, off, s[64:67], 0 offset:504
	buffer_load_dword v39, off, s[64:67], 0 offset:508
	v_add_f64 v[34:35], v[34:35], v[190:191]
	v_add_f64 v[32:33], v[36:37], v[32:33]
	s_waitcnt vmcnt(0)
	v_add_f64 v[6:7], v[6:7], v[38:39]
	s_clause 0x1
	buffer_load_dword v38, off, s[64:67], 0 offset:640
	buffer_load_dword v39, off, s[64:67], 0 offset:644
	s_waitcnt vmcnt(0)
	v_fma_f64 v[38:39], v[150:151], s[48:49], v[38:39]
	v_add_f64 v[28:29], v[38:39], v[28:29]
	s_clause 0x5
	buffer_load_dword v38, off, s[64:67], 0 offset:320
	buffer_load_dword v39, off, s[64:67], 0 offset:324
	buffer_load_dword v40, off, s[64:67], 0 offset:392
	buffer_load_dword v41, off, s[64:67], 0 offset:396
	buffer_load_dword v36, off, s[64:67], 0 offset:448
	buffer_load_dword v37, off, s[64:67], 0 offset:452
	s_waitcnt vmcnt(4)
	v_fma_f64 v[38:39], v[138:139], s[40:41], v[38:39]
	s_waitcnt vmcnt(2)
	v_fma_f64 v[40:41], v[170:171], s[42:43], -v[40:41]
	s_waitcnt vmcnt(0)
	v_add_f64 v[2:3], v[2:3], v[36:37]
	s_clause 0x1
	buffer_load_dword v36, off, s[64:67], 0 offset:440
	buffer_load_dword v37, off, s[64:67], 0 offset:444
	v_add_f64 v[34:35], v[38:39], v[34:35]
	v_add_f64 v[32:33], v[40:41], v[32:33]
	s_waitcnt vmcnt(0)
	v_add_f64 v[6:7], v[6:7], v[36:37]
	s_clause 0x1
	buffer_load_dword v36, off, s[64:67], 0 offset:632
	buffer_load_dword v37, off, s[64:67], 0 offset:636
	s_waitcnt vmcnt(0)
	v_fma_f64 v[36:37], v[182:183], s[36:37], -v[36:37]
	v_add_f64 v[30:31], v[36:37], v[30:31]
	s_clause 0x5
	buffer_load_dword v36, off, s[64:67], 0 offset:328
	buffer_load_dword v37, off, s[64:67], 0 offset:332
	;; [unrolled: 1-line block ×6, first 2 shown]
	s_waitcnt vmcnt(4)
	v_fma_f64 v[36:37], v[142:143], s[38:39], v[36:37]
	s_waitcnt vmcnt(2)
	v_fma_f64 v[38:39], v[178:179], s[36:37], -v[38:39]
	s_waitcnt vmcnt(0)
	v_add_f64 v[2:3], v[2:3], v[40:41]
	s_clause 0x1
	buffer_load_dword v40, off, s[64:67], 0 offset:368
	buffer_load_dword v41, off, s[64:67], 0 offset:372
	v_add_f64 v[34:35], v[36:37], v[34:35]
	v_add_f64 v[32:33], v[38:39], v[32:33]
	s_waitcnt vmcnt(0)
	v_add_f64 v[6:7], v[6:7], v[40:41]
	s_clause 0x1
	buffer_load_dword v40, off, s[64:67], 0 offset:624
	buffer_load_dword v41, off, s[64:67], 0 offset:628
	s_waitcnt vmcnt(0)
	v_fma_f64 v[40:41], v[156:157], s[24:25], v[40:41]
	v_add_f64 v[28:29], v[40:41], v[28:29]
	s_clause 0x5
	buffer_load_dword v40, off, s[64:67], 0 offset:336
	buffer_load_dword v41, off, s[64:67], 0 offset:340
	;; [unrolled: 1-line block ×6, first 2 shown]
	s_waitcnt vmcnt(4)
	v_fma_f64 v[40:41], v[146:147], s[34:35], v[40:41]
	s_waitcnt vmcnt(2)
	v_fma_f64 v[36:37], v[182:183], s[30:31], -v[36:37]
	s_waitcnt vmcnt(0)
	v_add_f64 v[2:3], v[2:3], v[38:39]
	s_clause 0x1
	buffer_load_dword v38, off, s[64:67], 0 offset:296
	buffer_load_dword v39, off, s[64:67], 0 offset:300
	v_add_f64 v[34:35], v[40:41], v[34:35]
	v_add_f64 v[32:33], v[36:37], v[32:33]
	s_waitcnt vmcnt(0)
	v_add_f64 v[6:7], v[6:7], v[38:39]
	s_clause 0x1
	buffer_load_dword v38, off, s[64:67], 0 offset:616
	buffer_load_dword v39, off, s[64:67], 0 offset:620
	s_waitcnt vmcnt(0)
	v_fma_f64 v[38:39], v[186:187], s[14:15], -v[38:39]
	v_add_f64 v[30:31], v[38:39], v[30:31]
	s_clause 0x5
	buffer_load_dword v38, off, s[64:67], 0 offset:344
	buffer_load_dword v39, off, s[64:67], 0 offset:348
	;; [unrolled: 1-line block ×6, first 2 shown]
	s_waitcnt vmcnt(4)
	v_fma_f64 v[38:39], v[150:151], s[28:29], v[38:39]
	s_waitcnt vmcnt(2)
	v_fma_f64 v[40:41], v[186:187], s[26:27], -v[40:41]
	s_waitcnt vmcnt(0)
	v_add_f64 v[2:3], v[2:3], v[36:37]
	s_clause 0x1
	buffer_load_dword v36, off, s[64:67], 0 offset:280
	buffer_load_dword v37, off, s[64:67], 0 offset:284
	v_add_f64 v[34:35], v[38:39], v[34:35]
	v_add_f64 v[32:33], v[40:41], v[32:33]
	s_waitcnt vmcnt(0)
	v_add_f64 v[6:7], v[6:7], v[36:37]
	s_clause 0x1
	buffer_load_dword v36, off, s[64:67], 0 offset:608
	buffer_load_dword v37, off, s[64:67], 0 offset:612
	s_waitcnt vmcnt(0)
	v_fma_f64 v[36:37], v[172:173], s[12:13], -v[36:37]
	v_add_f64 v[36:37], v[36:37], v[30:31]
	s_clause 0xf
	buffer_load_dword v30, off, s[64:67], 0 offset:360
	buffer_load_dword v31, off, s[64:67], 0 offset:364
	;; [unrolled: 1-line block ×16, first 2 shown]
	s_waitcnt vmcnt(14)
	v_fma_f64 v[30:31], v[156:157], s[20:21], v[30:31]
	s_waitcnt vmcnt(12)
	v_fma_f64 v[38:39], v[188:189], s[10:11], v[38:39]
	;; [unrolled: 2-line block ×3, first 2 shown]
	s_waitcnt vmcnt(8)
	v_fma_f64 v[44:45], v[172:173], s[18:19], -v[44:45]
	s_waitcnt vmcnt(6)
	v_add_f64 v[2:3], v[2:3], v[40:41]
	s_waitcnt vmcnt(4)
	v_mul_f64 v[40:41], v[8:9], v[46:47]
	v_mul_f64 v[46:47], v[0:1], v[46:47]
	s_waitcnt vmcnt(2)
	v_add_f64 v[6:7], v[6:7], v[48:49]
	s_waitcnt vmcnt(0)
	v_mul_f64 v[48:49], v[10:11], v[50:51]
	v_mul_f64 v[50:51], v[4:5], v[50:51]
	v_add_f64 v[30:31], v[30:31], v[34:35]
	s_clause 0x3
	buffer_load_dword v34, off, s[64:67], 0 offset:256
	buffer_load_dword v35, off, s[64:67], 0 offset:260
	;; [unrolled: 1-line block ×4, first 2 shown]
	v_add_f64 v[28:29], v[38:39], v[28:29]
	v_add_f64 v[32:33], v[44:45], v[32:33]
	v_mad_u64_u32 v[44:45], null, s2, v131, 0
	v_add_f64 v[42:43], v[42:43], v[30:31]
	s_waitcnt vmcnt(2)
	v_add_f64 v[34:35], v[2:3], v[34:35]
	s_waitcnt vmcnt(0)
	v_fma_f64 v[2:3], v[0:1], v[52:53], v[40:41]
	v_fma_f64 v[0:1], v[8:9], v[52:53], -v[46:47]
	s_clause 0x3
	buffer_load_dword v8, off, s[64:67], 0 offset:248
	buffer_load_dword v9, off, s[64:67], 0 offset:252
	;; [unrolled: 1-line block ×4, first 2 shown]
	v_mov_b32_e32 v52, 0x227
	s_waitcnt vmcnt(2)
	v_add_f64 v[40:41], v[6:7], v[8:9]
	s_waitcnt vmcnt(0)
	v_fma_f64 v[6:7], v[4:5], v[58:59], v[48:49]
	s_clause 0x1
	buffer_load_dword v4, off, s[64:67], 0 offset:160
	buffer_load_dword v5, off, s[64:67], 0 offset:164
	s_waitcnt vmcnt(0)
	v_mul_f64 v[8:9], v[14:15], v[4:5]
	v_mul_f64 v[46:47], v[12:13], v[4:5]
	buffer_load_dword v4, off, s[64:67], 0 offset:4 ; 4-byte Folded Reload
	s_waitcnt vmcnt(0)
	v_mul_u32_u24_sdwa v4, v4, v52 dst_sel:DWORD dst_unused:UNUSED_PAD src0_sel:WORD_0 src1_sel:DWORD
	s_clause 0x3
	buffer_load_dword v52, off, s[64:67], 0 offset:176
	buffer_load_dword v53, off, s[64:67], 0 offset:180
	;; [unrolled: 1-line block ×4, first 2 shown]
	v_lshrrev_b32_e32 v60, 16, v4
	v_fma_f64 v[4:5], v[10:11], v[58:59], -v[50:51]
	s_clause 0x3
	buffer_load_dword v10, off, s[64:67], 0 offset:216
	buffer_load_dword v11, off, s[64:67], 0 offset:220
	;; [unrolled: 1-line block ×4, first 2 shown]
	s_waitcnt vmcnt(6)
	v_mul_f64 v[48:49], v[16:17], v[52:53]
	v_mul_f64 v[52:53], v[18:19], v[52:53]
	s_waitcnt vmcnt(4)
	v_mul_f64 v[54:55], v[20:21], v[56:57]
	v_mul_f64 v[56:57], v[22:23], v[56:57]
	;; [unrolled: 3-line block ×3, first 2 shown]
	v_mul_lo_u16 v10, 0x121, v60
	s_clause 0x3
	buffer_load_dword v60, off, s[64:67], 0 offset:104
	buffer_load_dword v61, off, s[64:67], 0 offset:108
	;; [unrolled: 1-line block ×4, first 2 shown]
	s_waitcnt vmcnt(4)
	v_mul_f64 v[38:39], v[36:37], v[67:68]
	v_add_nc_u32_sdwa v64, v128, v10 dst_sel:DWORD dst_unused:UNUSED_PAD src0_sel:DWORD src1_sel:WORD_0
	v_mad_u64_u32 v[62:63], null, s0, v64, 0
	s_waitcnt vmcnt(2)
	v_mul_f64 v[30:31], v[34:35], v[60:61]
	s_waitcnt vmcnt(0)
	v_fma_f64 v[10:11], v[12:13], v[65:66], v[8:9]
	s_clause 0x1
	buffer_load_dword v12, off, s[64:67], 0 offset:144
	buffer_load_dword v13, off, s[64:67], 0 offset:148
	v_fma_f64 v[8:9], v[14:15], v[65:66], -v[46:47]
	v_mov_b32_e32 v46, v63
	v_mul_f64 v[60:61], v[40:41], v[60:61]
	s_waitcnt vmcnt(0)
	v_fma_f64 v[14:15], v[18:19], v[12:13], v[48:49]
	v_fma_f64 v[12:13], v[16:17], v[12:13], -v[52:53]
	s_clause 0x1
	buffer_load_dword v16, off, s[64:67], 0 offset:152
	buffer_load_dword v17, off, s[64:67], 0 offset:156
	v_mad_u64_u32 v[47:48], null, s3, v131, v[45:46]
	v_mul_f64 v[48:49], v[28:29], v[67:68]
	v_add_nc_u32_e32 v52, 34, v64
	s_lshl_b64 s[2:3], s[6:7], 4
	s_add_u32 s2, s4, s2
	s_addc_u32 s3, s5, s3
	v_mov_b32_e32 v45, v47
	s_waitcnt vmcnt(0)
	v_fma_f64 v[18:19], v[22:23], v[16:17], v[54:55]
	v_fma_f64 v[16:17], v[20:21], v[16:17], -v[56:57]
	s_clause 0x3
	buffer_load_dword v20, off, s[64:67], 0 offset:168
	buffer_load_dword v21, off, s[64:67], 0 offset:172
	;; [unrolled: 1-line block ×4, first 2 shown]
	s_waitcnt vmcnt(2)
	v_fma_f64 v[22:23], v[26:27], v[20:21], v[50:51]
	s_waitcnt vmcnt(0)
	v_fma_f64 v[26:27], v[28:29], v[65:66], v[38:39]
	s_clause 0x1
	buffer_load_dword v28, off, s[64:67], 0 offset:200
	buffer_load_dword v29, off, s[64:67], 0 offset:204
	v_fma_f64 v[20:21], v[24:25], v[20:21], -v[58:59]
	v_mad_u64_u32 v[24:25], null, s1, v64, v[46:47]
	v_add_nc_u32_e32 v50, 17, v64
	v_add_nc_u32_e32 v58, 51, v64
	v_mov_b32_e32 v63, v24
	v_lshlrev_b64 v[24:25], 4, v[44:45]
	v_mad_u64_u32 v[44:45], null, s0, v52, 0
	v_add_co_u32 v56, vcc_lo, s2, v24
	v_add_co_ci_u32_e32 v57, vcc_lo, s3, v25, vcc_lo
	v_mov_b32_e32 v25, v45
	s_waitcnt vmcnt(0)
	v_mul_f64 v[38:39], v[28:29], v[32:33]
	v_mul_f64 v[46:47], v[28:29], v[42:43]
	s_clause 0x1
	buffer_load_dword v28, off, s[64:67], 0 offset:88
	buffer_load_dword v29, off, s[64:67], 0 offset:92
	s_waitcnt vmcnt(0)
	v_fma_f64 v[30:31], v[40:41], v[28:29], v[30:31]
	v_mad_u64_u32 v[40:41], null, s0, v50, 0
	v_fma_f64 v[28:29], v[34:35], v[28:29], -v[60:61]
	v_lshlrev_b64 v[34:35], 4, v[62:63]
	v_mov_b32_e32 v24, v41
	v_add_co_u32 v54, vcc_lo, v56, v34
	v_add_co_ci_u32_e32 v55, vcc_lo, v57, v35, vcc_lo
	v_mad_u64_u32 v[50:51], null, s1, v50, v[24:25]
	v_mad_u64_u32 v[51:52], null, s1, v52, v[25:26]
	v_fma_f64 v[24:25], v[36:37], v[65:66], -v[48:49]
	s_clause 0x1
	buffer_load_dword v36, off, s[64:67], 0 offset:96
	buffer_load_dword v37, off, s[64:67], 0 offset:100
	v_mad_u64_u32 v[52:53], null, s0, v58, 0
	v_mov_b32_e32 v41, v50
	v_mov_b32_e32 v45, v51
	global_store_dwordx4 v[54:55], v[28:31], off
	v_lshlrev_b64 v[29:30], 4, v[40:41]
	v_mov_b32_e32 v28, v53
	s_waitcnt vmcnt(0)
	v_fma_f64 v[34:35], v[36:37], v[42:43], v[38:39]
	v_fma_f64 v[32:33], v[36:37], v[32:33], -v[46:47]
	v_mad_u64_u32 v[36:37], null, s1, v58, v[28:29]
	v_add_nc_u32_e32 v43, 0x44, v64
	v_lshlrev_b64 v[37:38], 4, v[44:45]
	v_add_co_u32 v28, vcc_lo, v56, v29
	v_add_co_ci_u32_e32 v29, vcc_lo, v57, v30, vcc_lo
	v_mad_u64_u32 v[39:40], null, s0, v43, 0
	v_mov_b32_e32 v53, v36
	v_add_co_u32 v30, vcc_lo, v56, v37
	v_add_nc_u32_e32 v45, 0x55, v64
	v_add_co_ci_u32_e32 v31, vcc_lo, v57, v38, vcc_lo
	v_lshlrev_b64 v[37:38], 4, v[52:53]
	v_mov_b32_e32 v36, v40
	v_mad_u64_u32 v[41:42], null, s0, v45, 0
	global_store_dwordx4 v[28:29], v[32:35], off
	global_store_dwordx4 v[30:31], v[24:27], off
	v_mad_u64_u32 v[43:44], null, s1, v43, v[36:37]
	v_add_co_u32 v24, vcc_lo, v56, v37
	v_mov_b32_e32 v26, v42
	v_add_co_ci_u32_e32 v25, vcc_lo, v57, v38, vcc_lo
                                        ; kill: def $vgpr27 killed $sgpr0 killed $exec
	v_add_nc_u32_e32 v28, 0x66, v64
	v_mov_b32_e32 v40, v43
	v_mad_u64_u32 v[26:27], null, s1, v45, v[26:27]
	global_store_dwordx4 v[24:25], v[20:23], off
	v_mad_u64_u32 v[20:21], null, s0, v28, 0
	v_lshlrev_b64 v[22:23], 4, v[39:40]
	v_add_nc_u32_e32 v29, 0x77, v64
	v_mov_b32_e32 v42, v26
	v_add_co_u32 v22, vcc_lo, v56, v22
	v_lshlrev_b64 v[24:25], 4, v[41:42]
	v_add_co_ci_u32_e32 v23, vcc_lo, v57, v23, vcc_lo
	v_mad_u64_u32 v[26:27], null, s1, v28, v[21:22]
	v_mad_u64_u32 v[27:28], null, s0, v29, 0
	v_add_co_u32 v24, vcc_lo, v56, v24
	v_add_co_ci_u32_e32 v25, vcc_lo, v57, v25, vcc_lo
	global_store_dwordx4 v[22:23], v[16:19], off
	v_mov_b32_e32 v21, v26
	v_mov_b32_e32 v16, v28
	v_add_nc_u32_e32 v19, 0x88, v64
	global_store_dwordx4 v[24:25], v[12:15], off
	v_lshlrev_b64 v[12:13], 4, v[20:21]
	v_mad_u64_u32 v[14:15], null, s1, v29, v[16:17]
	v_mad_u64_u32 v[15:16], null, s0, v19, 0
	v_add_nc_u32_e32 v20, 0x99, v64
	v_add_co_u32 v12, vcc_lo, v56, v12
	v_add_co_ci_u32_e32 v13, vcc_lo, v57, v13, vcc_lo
	v_mov_b32_e32 v28, v14
	v_mad_u64_u32 v[17:18], null, s0, v20, 0
	v_mov_b32_e32 v14, v16
	v_add_nc_u32_e32 v21, 0xaa, v64
	global_store_dwordx4 v[12:13], v[8:11], off
	v_lshlrev_b64 v[8:9], 4, v[27:28]
	v_mad_u64_u32 v[10:11], null, s1, v19, v[14:15]
	v_mad_u64_u32 v[12:13], null, s0, v21, 0
	v_mov_b32_e32 v11, v18
	v_add_co_u32 v8, vcc_lo, v56, v8
	v_add_co_ci_u32_e32 v9, vcc_lo, v57, v9, vcc_lo
	v_mov_b32_e32 v16, v10
	v_mad_u64_u32 v[10:11], null, s1, v20, v[11:12]
	v_mov_b32_e32 v11, v13
	global_store_dwordx4 v[8:9], v[4:7], off
	v_lshlrev_b64 v[4:5], 4, v[15:16]
	v_add_nc_u32_e32 v14, 0xbb, v64
	v_mad_u64_u32 v[6:7], null, s1, v21, v[11:12]
	v_mov_b32_e32 v18, v10
	v_add_co_u32 v4, vcc_lo, v56, v4
	v_add_co_ci_u32_e32 v5, vcc_lo, v57, v5, vcc_lo
	v_lshlrev_b64 v[8:9], 4, v[17:18]
	v_mov_b32_e32 v13, v6
	v_mad_u64_u32 v[19:20], null, s0, v14, 0
	global_store_dwordx4 v[4:5], v[0:3], off
	v_add_nc_u32_e32 v10, 0xcc, v64
	v_lshlrev_b64 v[0:1], 4, v[12:13]
	v_add_co_u32 v2, vcc_lo, v56, v8
	v_add_co_ci_u32_e32 v3, vcc_lo, v57, v9, vcc_lo
	v_mov_b32_e32 v7, v20
	v_add_co_u32 v0, vcc_lo, v56, v0
	v_add_co_ci_u32_e32 v1, vcc_lo, v57, v1, vcc_lo
	global_store_dwordx4 v[2:3], v[124:127], off
	global_store_dwordx4 v[0:1], v[158:161], off
	v_mad_u64_u32 v[6:7], null, s1, v14, v[7:8]
	s_clause 0x3
	buffer_load_dword v13, off, s[64:67], 0 offset:112
	buffer_load_dword v14, off, s[64:67], 0 offset:116
	;; [unrolled: 1-line block ×4, first 2 shown]
	v_mad_u64_u32 v[4:5], null, s0, v10, 0
	v_add_nc_u32_e32 v11, 0xdd, v64
	v_add_nc_u32_e32 v12, 0xee, v64
	v_mov_b32_e32 v20, v6
	v_mov_b32_e32 v0, v5
	v_lshlrev_b64 v[6:7], 4, v[19:20]
	v_add_co_u32 v1, vcc_lo, v56, v6
	v_add_co_ci_u32_e32 v2, vcc_lo, v57, v7, vcc_lo
	v_mad_u64_u32 v[5:6], null, s1, v10, v[0:1]
	v_mad_u64_u32 v[6:7], null, s0, v11, 0
	v_lshlrev_b64 v[3:4], 4, v[4:5]
	v_add_nc_u32_e32 v5, 0x110, v64
	s_waitcnt vmcnt(0)
	global_store_dwordx4 v[1:2], v[13:16], off
	v_add_nc_u32_e32 v13, 0xff, v64
	v_mad_u64_u32 v[0:1], null, s0, v12, 0
	v_mov_b32_e32 v2, v7
	v_mad_u64_u32 v[8:9], null, s0, v13, 0
	v_mad_u64_u32 v[10:11], null, s1, v11, v[2:3]
	;; [unrolled: 1-line block ×3, first 2 shown]
	v_add_co_u32 v3, vcc_lo, v56, v3
	v_mov_b32_e32 v2, v9
	v_mad_u64_u32 v[11:12], null, s0, v5, 0
	v_mov_b32_e32 v7, v10
	v_add_co_ci_u32_e32 v4, vcc_lo, v57, v4, vcc_lo
	v_mad_u64_u32 v[9:10], null, s1, v13, v[2:3]
	s_clause 0x3
	buffer_load_dword v13, off, s[64:67], 0 offset:72
	buffer_load_dword v14, off, s[64:67], 0 offset:76
	buffer_load_dword v15, off, s[64:67], 0 offset:80
	buffer_load_dword v16, off, s[64:67], 0 offset:84
	v_mov_b32_e32 v2, v12
	v_lshlrev_b64 v[0:1], 4, v[0:1]
	s_waitcnt vmcnt(0)
	global_store_dwordx4 v[3:4], v[13:16], off
	v_lshlrev_b64 v[3:4], 4, v[6:7]
	v_mad_u64_u32 v[5:6], null, s1, v5, v[2:3]
	v_add_co_u32 v2, vcc_lo, v56, v3
	v_add_co_ci_u32_e32 v3, vcc_lo, v57, v4, vcc_lo
	v_lshlrev_b64 v[6:7], 4, v[8:9]
	v_add_co_u32 v0, vcc_lo, v56, v0
	v_mov_b32_e32 v12, v5
	v_add_co_ci_u32_e32 v1, vcc_lo, v57, v1, vcc_lo
	v_add_co_u32 v6, vcc_lo, v56, v6
	v_lshlrev_b64 v[4:5], 4, v[11:12]
	s_clause 0x3
	buffer_load_dword v8, off, s[64:67], 0 offset:56
	buffer_load_dword v9, off, s[64:67], 0 offset:60
	;; [unrolled: 1-line block ×4, first 2 shown]
	v_add_co_ci_u32_e32 v7, vcc_lo, v57, v7, vcc_lo
	v_add_co_u32 v4, vcc_lo, v56, v4
	v_add_co_ci_u32_e32 v5, vcc_lo, v57, v5, vcc_lo
	s_waitcnt vmcnt(0)
	global_store_dwordx4 v[2:3], v[8:11], off
	s_clause 0x3
	buffer_load_dword v8, off, s[64:67], 0 offset:40
	buffer_load_dword v9, off, s[64:67], 0 offset:44
	buffer_load_dword v10, off, s[64:67], 0 offset:48
	buffer_load_dword v11, off, s[64:67], 0 offset:52
	s_waitcnt vmcnt(0)
	global_store_dwordx4 v[0:1], v[8:11], off
	s_clause 0x3
	buffer_load_dword v0, off, s[64:67], 0 offset:24
	buffer_load_dword v1, off, s[64:67], 0 offset:28
	buffer_load_dword v2, off, s[64:67], 0 offset:32
	buffer_load_dword v3, off, s[64:67], 0 offset:36
	;; [unrolled: 7-line block ×3, first 2 shown]
	s_waitcnt vmcnt(0)
	global_store_dwordx4 v[4:5], v[0:3], off
.LBB0_16:
	s_endpgm
	.section	.rodata,"a",@progbits
	.p2align	6, 0x0
	.amdhsa_kernel fft_rtc_fwd_len289_factors_17_17_wgs_119_tpt_17_dp_ip_CI_sbcc_twdbase8_2step_dirReg
		.amdhsa_group_segment_fixed_size 0
		.amdhsa_private_segment_fixed_size 732
		.amdhsa_kernarg_size 96
		.amdhsa_user_sgpr_count 6
		.amdhsa_user_sgpr_private_segment_buffer 1
		.amdhsa_user_sgpr_dispatch_ptr 0
		.amdhsa_user_sgpr_queue_ptr 0
		.amdhsa_user_sgpr_kernarg_segment_ptr 1
		.amdhsa_user_sgpr_dispatch_id 0
		.amdhsa_user_sgpr_flat_scratch_init 0
		.amdhsa_user_sgpr_private_segment_size 0
		.amdhsa_wavefront_size32 1
		.amdhsa_uses_dynamic_stack 0
		.amdhsa_system_sgpr_private_segment_wavefront_offset 1
		.amdhsa_system_sgpr_workgroup_id_x 1
		.amdhsa_system_sgpr_workgroup_id_y 0
		.amdhsa_system_sgpr_workgroup_id_z 0
		.amdhsa_system_sgpr_workgroup_info 0
		.amdhsa_system_vgpr_workitem_id 0
		.amdhsa_next_free_vgpr 256
		.amdhsa_next_free_sgpr 68
		.amdhsa_reserve_vcc 1
		.amdhsa_reserve_flat_scratch 0
		.amdhsa_float_round_mode_32 0
		.amdhsa_float_round_mode_16_64 0
		.amdhsa_float_denorm_mode_32 3
		.amdhsa_float_denorm_mode_16_64 3
		.amdhsa_dx10_clamp 1
		.amdhsa_ieee_mode 1
		.amdhsa_fp16_overflow 0
		.amdhsa_workgroup_processor_mode 1
		.amdhsa_memory_ordered 1
		.amdhsa_forward_progress 0
		.amdhsa_shared_vgpr_count 0
		.amdhsa_exception_fp_ieee_invalid_op 0
		.amdhsa_exception_fp_denorm_src 0
		.amdhsa_exception_fp_ieee_div_zero 0
		.amdhsa_exception_fp_ieee_overflow 0
		.amdhsa_exception_fp_ieee_underflow 0
		.amdhsa_exception_fp_ieee_inexact 0
		.amdhsa_exception_int_div_zero 0
	.end_amdhsa_kernel
	.text
.Lfunc_end0:
	.size	fft_rtc_fwd_len289_factors_17_17_wgs_119_tpt_17_dp_ip_CI_sbcc_twdbase8_2step_dirReg, .Lfunc_end0-fft_rtc_fwd_len289_factors_17_17_wgs_119_tpt_17_dp_ip_CI_sbcc_twdbase8_2step_dirReg
                                        ; -- End function
	.section	.AMDGPU.csdata,"",@progbits
; Kernel info:
; codeLenInByte = 22200
; NumSgprs: 70
; NumVgprs: 256
; ScratchSize: 732
; MemoryBound: 1
; FloatMode: 240
; IeeeMode: 1
; LDSByteSize: 0 bytes/workgroup (compile time only)
; SGPRBlocks: 8
; VGPRBlocks: 31
; NumSGPRsForWavesPerEU: 70
; NumVGPRsForWavesPerEU: 256
; Occupancy: 4
; WaveLimiterHint : 1
; COMPUTE_PGM_RSRC2:SCRATCH_EN: 1
; COMPUTE_PGM_RSRC2:USER_SGPR: 6
; COMPUTE_PGM_RSRC2:TRAP_HANDLER: 0
; COMPUTE_PGM_RSRC2:TGID_X_EN: 1
; COMPUTE_PGM_RSRC2:TGID_Y_EN: 0
; COMPUTE_PGM_RSRC2:TGID_Z_EN: 0
; COMPUTE_PGM_RSRC2:TIDIG_COMP_CNT: 0
	.text
	.p2alignl 6, 3214868480
	.fill 48, 4, 3214868480
	.type	__hip_cuid_67b3caafda3b211b,@object ; @__hip_cuid_67b3caafda3b211b
	.section	.bss,"aw",@nobits
	.globl	__hip_cuid_67b3caafda3b211b
__hip_cuid_67b3caafda3b211b:
	.byte	0                               ; 0x0
	.size	__hip_cuid_67b3caafda3b211b, 1

	.ident	"AMD clang version 19.0.0git (https://github.com/RadeonOpenCompute/llvm-project roc-6.4.0 25133 c7fe45cf4b819c5991fe208aaa96edf142730f1d)"
	.section	".note.GNU-stack","",@progbits
	.addrsig
	.addrsig_sym __hip_cuid_67b3caafda3b211b
	.amdgpu_metadata
---
amdhsa.kernels:
  - .args:
      - .actual_access:  read_only
        .address_space:  global
        .offset:         0
        .size:           8
        .value_kind:     global_buffer
      - .address_space:  global
        .offset:         8
        .size:           8
        .value_kind:     global_buffer
      - .offset:         16
        .size:           8
        .value_kind:     by_value
      - .actual_access:  read_only
        .address_space:  global
        .offset:         24
        .size:           8
        .value_kind:     global_buffer
      - .actual_access:  read_only
        .address_space:  global
        .offset:         32
        .size:           8
        .value_kind:     global_buffer
      - .offset:         40
        .size:           8
        .value_kind:     by_value
      - .actual_access:  read_only
        .address_space:  global
        .offset:         48
        .size:           8
        .value_kind:     global_buffer
      - .actual_access:  read_only
        .address_space:  global
        .offset:         56
        .size:           8
        .value_kind:     global_buffer
      - .offset:         64
        .size:           4
        .value_kind:     by_value
      - .actual_access:  read_only
        .address_space:  global
        .offset:         72
        .size:           8
        .value_kind:     global_buffer
      - .actual_access:  read_only
        .address_space:  global
        .offset:         80
        .size:           8
        .value_kind:     global_buffer
      - .address_space:  global
        .offset:         88
        .size:           8
        .value_kind:     global_buffer
    .group_segment_fixed_size: 0
    .kernarg_segment_align: 8
    .kernarg_segment_size: 96
    .language:       OpenCL C
    .language_version:
      - 2
      - 0
    .max_flat_workgroup_size: 119
    .name:           fft_rtc_fwd_len289_factors_17_17_wgs_119_tpt_17_dp_ip_CI_sbcc_twdbase8_2step_dirReg
    .private_segment_fixed_size: 732
    .sgpr_count:     70
    .sgpr_spill_count: 0
    .symbol:         fft_rtc_fwd_len289_factors_17_17_wgs_119_tpt_17_dp_ip_CI_sbcc_twdbase8_2step_dirReg.kd
    .uniform_work_group_size: 1
    .uses_dynamic_stack: false
    .vgpr_count:     256
    .vgpr_spill_count: 182
    .wavefront_size: 32
    .workgroup_processor_mode: 1
amdhsa.target:   amdgcn-amd-amdhsa--gfx1030
amdhsa.version:
  - 1
  - 2
...

	.end_amdgpu_metadata
